;; amdgpu-corpus repo=ROCm/rocFFT kind=compiled arch=gfx1030 opt=O3
	.text
	.amdgcn_target "amdgcn-amd-amdhsa--gfx1030"
	.amdhsa_code_object_version 6
	.protected	fft_rtc_fwd_len169_factors_13_13_wgs_156_tpt_13_dp_ip_CI_sbcc_twdbase8_3step_dirReg ; -- Begin function fft_rtc_fwd_len169_factors_13_13_wgs_156_tpt_13_dp_ip_CI_sbcc_twdbase8_3step_dirReg
	.globl	fft_rtc_fwd_len169_factors_13_13_wgs_156_tpt_13_dp_ip_CI_sbcc_twdbase8_3step_dirReg
	.p2align	8
	.type	fft_rtc_fwd_len169_factors_13_13_wgs_156_tpt_13_dp_ip_CI_sbcc_twdbase8_3step_dirReg,@function
fft_rtc_fwd_len169_factors_13_13_wgs_156_tpt_13_dp_ip_CI_sbcc_twdbase8_3step_dirReg: ; @fft_rtc_fwd_len169_factors_13_13_wgs_156_tpt_13_dp_ip_CI_sbcc_twdbase8_3step_dirReg
; %bb.0:
	s_load_dwordx4 s[12:15], s[4:5], 0x18
	s_mov_b64 s[54:55], s[2:3]
	s_mov_b64 s[52:53], s[0:1]
	v_mov_b32_e32 v105, v0
	s_add_u32 s52, s52, s7
	s_addc_u32 s53, s53, 0
	s_mov_b64 s[20:21], 0
	s_waitcnt lgkmcnt(0)
	s_load_dwordx2 s[16:17], s[12:13], 0x8
	s_waitcnt lgkmcnt(0)
	s_add_u32 s0, s16, -1
	s_addc_u32 s1, s17, -1
	s_add_u32 s2, 0, 0x55540000
	s_addc_u32 s3, 0, 0x55
	s_mul_hi_u32 s8, s2, -12
	s_add_i32 s3, s3, 0x15555500
	s_sub_i32 s8, s8, s2
	s_mul_i32 s10, s3, -12
	s_mul_i32 s7, s2, -12
	s_add_i32 s8, s8, s10
	s_mul_hi_u32 s9, s2, s7
	s_mul_i32 s18, s2, s8
	s_mul_hi_u32 s10, s2, s8
	s_mul_hi_u32 s11, s3, s7
	s_mul_i32 s7, s3, s7
	s_add_u32 s9, s9, s18
	s_addc_u32 s10, 0, s10
	s_mul_hi_u32 s19, s3, s8
	s_add_u32 s7, s9, s7
	s_mul_i32 s8, s3, s8
	s_addc_u32 s7, s10, s11
	s_addc_u32 s9, s19, 0
	s_add_u32 s7, s7, s8
	v_add_co_u32 v0, s2, s2, s7
	s_addc_u32 s7, 0, s9
	s_cmp_lg_u32 s2, 0
	s_addc_u32 s2, s3, s7
	v_readfirstlane_b32 s3, v0
	s_mul_i32 s8, s0, s2
	s_mul_hi_u32 s7, s0, s2
	s_mul_hi_u32 s9, s1, s2
	s_mul_i32 s2, s1, s2
	s_mul_hi_u32 s10, s0, s3
	s_mul_hi_u32 s11, s1, s3
	s_mul_i32 s3, s1, s3
	s_add_u32 s8, s10, s8
	s_addc_u32 s7, 0, s7
	s_add_u32 s3, s8, s3
	s_addc_u32 s3, s7, s11
	s_addc_u32 s7, s9, 0
	s_add_u32 s2, s3, s2
	s_addc_u32 s3, 0, s7
	s_mul_i32 s8, s2, 12
	s_add_u32 s7, s2, 1
	v_sub_co_u32 v0, s0, s0, s8
	s_mul_hi_u32 s8, s2, 12
	s_addc_u32 s9, s3, 0
	s_mul_i32 s10, s3, 12
	v_sub_co_u32 v1, s11, v0, 12
	s_add_u32 s18, s2, 2
	s_addc_u32 s19, s3, 0
	s_add_i32 s8, s8, s10
	s_cmp_lg_u32 s0, 0
	v_readfirstlane_b32 s0, v1
	s_subb_u32 s1, s1, s8
	s_cmp_lg_u32 s11, 0
	s_subb_u32 s8, s1, 0
	s_cmp_gt_u32 s0, 11
	s_cselect_b32 s0, -1, 0
	s_cmp_eq_u32 s8, 0
	v_readfirstlane_b32 s8, v0
	s_cselect_b32 s0, s0, -1
	s_cmp_lg_u32 s0, 0
	s_cselect_b32 s0, s18, s7
	s_cselect_b32 s9, s19, s9
	s_cmp_gt_u32 s8, 11
	s_cselect_b32 s7, -1, 0
	s_cmp_eq_u32 s1, 0
	s_cselect_b32 s1, s7, -1
	s_mov_b32 s7, 0
	s_cmp_lg_u32 s1, 0
	s_cselect_b32 s0, s0, s2
	s_cselect_b32 s1, s9, s3
	s_add_u32 s18, s0, 1
	s_addc_u32 s19, s1, 0
	v_cmp_lt_u64_e64 s0, s[6:7], s[18:19]
	s_and_b32 vcc_lo, exec_lo, s0
	s_cbranch_vccnz .LBB0_2
; %bb.1:
	v_cvt_f32_u32_e32 v0, s18
	s_sub_i32 s1, 0, s18
	s_mov_b32 s21, s7
	v_rcp_iflag_f32_e32 v0, v0
	v_mul_f32_e32 v0, 0x4f7ffffe, v0
	v_cvt_u32_f32_e32 v0, v0
	v_readfirstlane_b32 s0, v0
	s_mul_i32 s1, s1, s0
	s_mul_hi_u32 s1, s0, s1
	s_add_i32 s0, s0, s1
	s_mul_hi_u32 s0, s6, s0
	s_mul_i32 s1, s0, s18
	s_add_i32 s2, s0, 1
	s_sub_i32 s1, s6, s1
	s_sub_i32 s3, s1, s18
	s_cmp_ge_u32 s1, s18
	s_cselect_b32 s0, s2, s0
	s_cselect_b32 s1, s3, s1
	s_add_i32 s2, s0, 1
	s_cmp_ge_u32 s1, s18
	s_cselect_b32 s20, s2, s0
.LBB0_2:
	s_load_dwordx4 s[0:3], s[14:15], 0x0
	s_clause 0x2
	s_load_dwordx4 s[8:11], s[4:5], 0x8
	s_load_dwordx2 s[48:49], s[4:5], 0x0
	s_load_dwordx2 s[4:5], s[4:5], 0x58
	s_mul_i32 s22, s20, s19
	s_mul_hi_u32 s23, s20, s18
	s_mul_i32 s24, s20, s18
	s_add_i32 s23, s23, s22
	s_sub_u32 s34, s6, s24
	s_subb_u32 s22, 0, s23
	s_mul_hi_u32 s33, s34, 12
	s_mul_i32 s22, s22, 12
	s_mul_i32 s34, s34, 12
	s_add_i32 s33, s33, s22
	s_waitcnt lgkmcnt(0)
	s_mul_i32 s22, s2, s33
	v_cmp_lt_u64_e64 s24, s[10:11], 3
	s_mul_hi_u32 s23, s2, s34
	s_mul_i32 s36, s2, s34
	s_add_i32 s22, s23, s22
	s_mul_i32 s23, s3, s34
	s_add_i32 s35, s22, s23
	s_and_b32 vcc_lo, exec_lo, s24
	s_cbranch_vccnz .LBB0_12
; %bb.3:
	s_add_u32 s22, s14, 16
	s_addc_u32 s23, s15, 0
	s_add_u32 s12, s12, 16
	s_addc_u32 s13, s13, 0
	s_mov_b64 s[24:25], 2
	s_mov_b32 s26, 0
.LBB0_4:                                ; =>This Inner Loop Header: Depth=1
	s_load_dwordx2 s[28:29], s[12:13], 0x0
	s_waitcnt lgkmcnt(0)
	s_or_b64 s[30:31], s[20:21], s[28:29]
	s_mov_b32 s27, s31
                                        ; implicit-def: $sgpr30_sgpr31
	s_cmp_lg_u64 s[26:27], 0
	s_mov_b32 s27, -1
	s_cbranch_scc0 .LBB0_6
; %bb.5:                                ;   in Loop: Header=BB0_4 Depth=1
	v_cvt_f32_u32_e32 v0, s28
	v_cvt_f32_u32_e32 v1, s29
	s_sub_u32 s31, 0, s28
	s_subb_u32 s37, 0, s29
	v_fmac_f32_e32 v0, 0x4f800000, v1
	v_rcp_f32_e32 v0, v0
	v_mul_f32_e32 v0, 0x5f7ffffc, v0
	v_mul_f32_e32 v1, 0x2f800000, v0
	v_trunc_f32_e32 v1, v1
	v_fmac_f32_e32 v0, 0xcf800000, v1
	v_cvt_u32_f32_e32 v1, v1
	v_cvt_u32_f32_e32 v0, v0
	v_readfirstlane_b32 s27, v1
	v_readfirstlane_b32 s30, v0
	s_mul_i32 s38, s31, s27
	s_mul_hi_u32 s40, s31, s30
	s_mul_i32 s39, s37, s30
	s_add_i32 s38, s40, s38
	s_mul_i32 s41, s31, s30
	s_add_i32 s38, s38, s39
	s_mul_hi_u32 s40, s30, s41
	s_mul_hi_u32 s42, s27, s41
	s_mul_i32 s39, s27, s41
	s_mul_hi_u32 s41, s30, s38
	s_mul_i32 s30, s30, s38
	s_mul_hi_u32 s43, s27, s38
	s_add_u32 s30, s40, s30
	s_addc_u32 s40, 0, s41
	s_add_u32 s30, s30, s39
	s_mul_i32 s38, s27, s38
	s_addc_u32 s30, s40, s42
	s_addc_u32 s39, s43, 0
	s_add_u32 s30, s30, s38
	s_addc_u32 s38, 0, s39
	v_add_co_u32 v0, s30, v0, s30
	s_cmp_lg_u32 s30, 0
	s_addc_u32 s27, s27, s38
	v_readfirstlane_b32 s30, v0
	s_mul_i32 s38, s31, s27
	s_mul_hi_u32 s39, s31, s30
	s_mul_i32 s37, s37, s30
	s_add_i32 s38, s39, s38
	s_mul_i32 s31, s31, s30
	s_add_i32 s38, s38, s37
	s_mul_hi_u32 s39, s27, s31
	s_mul_i32 s40, s27, s31
	s_mul_hi_u32 s31, s30, s31
	s_mul_hi_u32 s41, s30, s38
	s_mul_i32 s30, s30, s38
	s_mul_hi_u32 s37, s27, s38
	s_add_u32 s30, s31, s30
	s_addc_u32 s31, 0, s41
	s_add_u32 s30, s30, s40
	s_mul_i32 s38, s27, s38
	s_addc_u32 s30, s31, s39
	s_addc_u32 s31, s37, 0
	s_add_u32 s30, s30, s38
	s_addc_u32 s31, 0, s31
	v_add_co_u32 v0, s30, v0, s30
	s_cmp_lg_u32 s30, 0
	s_addc_u32 s27, s27, s31
	v_readfirstlane_b32 s30, v0
	s_mul_i32 s37, s20, s27
	s_mul_hi_u32 s31, s20, s27
	s_mul_hi_u32 s38, s21, s27
	s_mul_i32 s27, s21, s27
	s_mul_hi_u32 s39, s20, s30
	s_mul_hi_u32 s40, s21, s30
	s_mul_i32 s30, s21, s30
	s_add_u32 s37, s39, s37
	s_addc_u32 s31, 0, s31
	s_add_u32 s30, s37, s30
	s_addc_u32 s30, s31, s40
	s_addc_u32 s31, s38, 0
	s_add_u32 s30, s30, s27
	s_addc_u32 s31, 0, s31
	s_mul_hi_u32 s27, s28, s30
	s_mul_i32 s38, s28, s31
	s_mul_i32 s39, s28, s30
	s_add_i32 s27, s27, s38
	v_sub_co_u32 v0, s38, s20, s39
	s_mul_i32 s37, s29, s30
	s_add_i32 s27, s27, s37
	v_sub_co_u32 v1, s39, v0, s28
	s_sub_i32 s37, s21, s27
	s_cmp_lg_u32 s38, 0
	s_subb_u32 s37, s37, s29
	s_cmp_lg_u32 s39, 0
	v_readfirstlane_b32 s39, v1
	s_subb_u32 s37, s37, 0
	s_cmp_ge_u32 s37, s29
	s_cselect_b32 s40, -1, 0
	s_cmp_ge_u32 s39, s28
	s_cselect_b32 s39, -1, 0
	s_cmp_eq_u32 s37, s29
	s_cselect_b32 s37, s39, s40
	s_add_u32 s39, s30, 1
	s_addc_u32 s40, s31, 0
	s_add_u32 s41, s30, 2
	s_addc_u32 s42, s31, 0
	s_cmp_lg_u32 s37, 0
	s_cselect_b32 s37, s41, s39
	s_cselect_b32 s39, s42, s40
	s_cmp_lg_u32 s38, 0
	v_readfirstlane_b32 s38, v0
	s_subb_u32 s27, s21, s27
	s_cmp_ge_u32 s27, s29
	s_cselect_b32 s40, -1, 0
	s_cmp_ge_u32 s38, s28
	s_cselect_b32 s38, -1, 0
	s_cmp_eq_u32 s27, s29
	s_cselect_b32 s27, s38, s40
	s_cmp_lg_u32 s27, 0
	s_mov_b32 s27, 0
	s_cselect_b32 s31, s39, s31
	s_cselect_b32 s30, s37, s30
.LBB0_6:                                ;   in Loop: Header=BB0_4 Depth=1
	s_andn2_b32 vcc_lo, exec_lo, s27
	s_cbranch_vccnz .LBB0_8
; %bb.7:                                ;   in Loop: Header=BB0_4 Depth=1
	v_cvt_f32_u32_e32 v0, s28
	s_sub_i32 s30, 0, s28
	v_rcp_iflag_f32_e32 v0, v0
	v_mul_f32_e32 v0, 0x4f7ffffe, v0
	v_cvt_u32_f32_e32 v0, v0
	v_readfirstlane_b32 s27, v0
	s_mul_i32 s30, s30, s27
	s_mul_hi_u32 s30, s27, s30
	s_add_i32 s27, s27, s30
	s_mul_hi_u32 s27, s20, s27
	s_mul_i32 s30, s27, s28
	s_add_i32 s31, s27, 1
	s_sub_i32 s30, s20, s30
	s_sub_i32 s37, s30, s28
	s_cmp_ge_u32 s30, s28
	s_cselect_b32 s27, s31, s27
	s_cselect_b32 s30, s37, s30
	s_add_i32 s31, s27, 1
	s_cmp_ge_u32 s30, s28
	s_cselect_b32 s30, s31, s27
	s_mov_b32 s31, s26
.LBB0_8:                                ;   in Loop: Header=BB0_4 Depth=1
	s_load_dwordx2 s[38:39], s[22:23], 0x0
	s_mul_i32 s19, s28, s19
	s_mul_hi_u32 s27, s28, s18
	s_mul_i32 s37, s29, s18
	s_mul_i32 s29, s30, s29
	s_mul_hi_u32 s40, s30, s28
	s_mul_i32 s41, s31, s28
	s_add_i32 s19, s27, s19
	s_add_i32 s27, s40, s29
	s_mul_i32 s42, s30, s28
	s_add_i32 s19, s19, s37
	s_add_i32 s27, s27, s41
	s_sub_u32 s20, s20, s42
	s_subb_u32 s21, s21, s27
	s_mul_i32 s18, s28, s18
	s_waitcnt lgkmcnt(0)
	s_mul_i32 s21, s38, s21
	s_mul_hi_u32 s27, s38, s20
	s_add_i32 s21, s27, s21
	s_mul_i32 s27, s39, s20
	s_mul_i32 s20, s38, s20
	s_add_i32 s21, s21, s27
	s_add_u32 s36, s20, s36
	s_addc_u32 s35, s21, s35
	s_add_u32 s24, s24, 1
	s_addc_u32 s25, s25, 0
	s_add_u32 s22, s22, 8
	v_cmp_ge_u64_e64 s20, s[24:25], s[10:11]
	s_addc_u32 s23, s23, 0
	s_add_u32 s12, s12, 8
	s_addc_u32 s13, s13, 0
	s_and_b32 vcc_lo, exec_lo, s20
	s_cbranch_vccnz .LBB0_10
; %bb.9:                                ;   in Loop: Header=BB0_4 Depth=1
	s_mov_b64 s[20:21], s[30:31]
	s_branch .LBB0_4
.LBB0_10:
	v_cmp_lt_u64_e64 s7, s[6:7], s[18:19]
	s_mov_b64 s[20:21], 0
	s_and_b32 vcc_lo, exec_lo, s7
	s_cbranch_vccnz .LBB0_12
; %bb.11:
	v_cvt_f32_u32_e32 v0, s18
	s_sub_i32 s12, 0, s18
	v_rcp_iflag_f32_e32 v0, v0
	v_mul_f32_e32 v0, 0x4f7ffffe, v0
	v_cvt_u32_f32_e32 v0, v0
	v_readfirstlane_b32 s7, v0
	s_mul_i32 s12, s12, s7
	s_mul_hi_u32 s12, s7, s12
	s_add_i32 s7, s7, s12
	s_mul_hi_u32 s7, s6, s7
	s_mul_i32 s12, s7, s18
	s_sub_i32 s6, s6, s12
	s_add_i32 s12, s7, 1
	s_sub_i32 s13, s6, s18
	s_cmp_ge_u32 s6, s18
	s_cselect_b32 s7, s12, s7
	s_cselect_b32 s6, s13, s6
	s_add_i32 s12, s7, 1
	s_cmp_ge_u32 s6, s18
	s_cselect_b32 s20, s12, s7
.LBB0_12:
	s_lshl_b64 s[6:7], s[10:11], 3
	v_mul_u32_u24_e32 v0, 0x1556, v105
	s_add_u32 s6, s14, s6
	s_addc_u32 s7, s15, s7
                                        ; kill: def $vgpr1_vgpr2 killed $sgpr0_sgpr1 killed $exec
                                        ; implicit-def: $vgpr7_vgpr8
                                        ; implicit-def: $vgpr11_vgpr12
                                        ; implicit-def: $vgpr15_vgpr16
                                        ; implicit-def: $vgpr19_vgpr20
                                        ; implicit-def: $vgpr27_vgpr28
                                        ; implicit-def: $vgpr23_vgpr24
                                        ; implicit-def: $vgpr31_vgpr32
                                        ; implicit-def: $vgpr35_vgpr36
                                        ; implicit-def: $vgpr47_vgpr48
                                        ; implicit-def: $vgpr43_vgpr44
                                        ; implicit-def: $vgpr51_vgpr52
                                        ; implicit-def: $vgpr39_vgpr40
                                        ; implicit-def: $vgpr3_vgpr4
	s_load_dwordx2 s[6:7], s[6:7], 0x0
	v_lshrrev_b32_e32 v92, 16, v0
	v_mul_lo_u16 v0, v92, 12
	v_sub_nc_u16 v0, v105, v0
	v_and_b32_e32 v106, 0xffff, v0
	s_waitcnt lgkmcnt(0)
	s_mul_i32 s7, s7, s20
	s_mul_hi_u32 s10, s6, s20
	s_mul_i32 s6, s6, s20
	v_add_co_u32 v53, s11, s34, v106
	s_add_i32 s10, s10, s7
	v_add_co_ci_u32_e64 v54, null, s33, 0, s11
	s_add_u32 s6, s6, s36
	s_addc_u32 s7, s10, s35
	s_add_u32 s10, s34, 12
	s_addc_u32 s11, s33, 0
	v_cmp_gt_u64_e32 vcc_lo, s[16:17], v[53:54]
	v_cmp_le_u64_e64 s10, s[10:11], s[16:17]
	s_or_b32 s33, s10, vcc_lo
	s_and_saveexec_b32 s10, s33
	s_cbranch_execz .LBB0_14
; %bb.13:
	v_mad_u64_u32 v[1:2], null, s2, v106, 0
	v_mad_u64_u32 v[3:4], null, s0, v92, 0
	v_add_nc_u32_e32 v0, 13, v92
	v_add_nc_u32_e32 v11, 26, v92
	s_lshl_b64 s[12:13], s[6:7], 4
	v_add_nc_u32_e32 v13, 39, v92
	s_add_u32 s11, s4, s12
	v_mad_u64_u32 v[5:6], null, s0, v0, 0
	v_mad_u64_u32 v[7:8], null, s3, v106, v[2:3]
	s_addc_u32 s12, s5, s13
	v_add_nc_u32_e32 v16, 52, v92
	v_add_nc_u32_e32 v18, 0x41, v92
	v_add_nc_u32_e32 v19, 0x4e, v92
	v_mad_u64_u32 v[8:9], null, s1, v92, v[4:5]
	v_mov_b32_e32 v4, v6
	v_mov_b32_e32 v2, v7
	v_mad_u64_u32 v[9:10], null, s0, v11, 0
	v_add_nc_u32_e32 v21, 0x5b, v92
	v_mad_u64_u32 v[6:7], null, s1, v0, v[4:5]
	v_mov_b32_e32 v4, v8
	v_lshlrev_b64 v[1:2], 4, v[1:2]
	v_mad_u64_u32 v[7:8], null, s0, v13, 0
	v_add_nc_u32_e32 v27, 0x8f, v92
	v_lshlrev_b64 v[3:4], 4, v[3:4]
	v_add_nc_u32_e32 v28, 0x9c, v92
	v_add_co_u32 v0, vcc_lo, s11, v1
	v_add_co_ci_u32_e32 v20, vcc_lo, s12, v2, vcc_lo
	v_mad_u64_u32 v[25:26], null, s0, v28, 0
	v_add_co_u32 v1, vcc_lo, v0, v3
	v_add_co_ci_u32_e32 v2, vcc_lo, v20, v4, vcc_lo
	v_lshlrev_b64 v[3:4], 4, v[5:6]
	v_mad_u64_u32 v[5:6], null, s1, v11, v[10:11]
	v_mov_b32_e32 v6, v8
	v_add_co_u32 v11, vcc_lo, v0, v3
	v_mad_u64_u32 v[13:14], null, s1, v13, v[6:7]
	v_mad_u64_u32 v[14:15], null, s0, v16, 0
	v_mov_b32_e32 v10, v5
	v_add_co_ci_u32_e32 v12, vcc_lo, v20, v4, vcc_lo
	s_clause 0x1
	global_load_dwordx4 v[1:4], v[1:2], off
	global_load_dwordx4 v[37:40], v[11:12], off
	v_lshlrev_b64 v[5:6], 4, v[9:10]
	v_mad_u64_u32 v[10:11], null, s0, v18, 0
	v_mov_b32_e32 v9, v15
	v_mov_b32_e32 v8, v13
	v_add_co_u32 v5, vcc_lo, v0, v5
	v_add_co_ci_u32_e32 v6, vcc_lo, v20, v6, vcc_lo
	v_mad_u64_u32 v[12:13], null, s1, v16, v[9:10]
	v_mad_u64_u32 v[16:17], null, s0, v19, 0
	v_lshlrev_b64 v[7:8], 4, v[7:8]
	v_mov_b32_e32 v9, v11
	v_mov_b32_e32 v15, v12
	v_add_co_u32 v7, vcc_lo, v0, v7
	v_mad_u64_u32 v[11:12], null, s1, v18, v[9:10]
	v_mad_u64_u32 v[12:13], null, s0, v21, 0
	v_mov_b32_e32 v9, v17
	v_add_co_ci_u32_e32 v8, vcc_lo, v20, v8, vcc_lo
	s_clause 0x1
	global_load_dwordx4 v[49:52], v[5:6], off
	global_load_dwordx4 v[41:44], v[7:8], off
	v_mad_u64_u32 v[7:8], null, s1, v19, v[9:10]
	v_lshlrev_b64 v[9:10], 4, v[10:11]
	v_mov_b32_e32 v8, v13
	v_lshlrev_b64 v[5:6], 4, v[14:15]
	v_add_nc_u32_e32 v18, 0x68, v92
	v_mov_b32_e32 v17, v7
	v_mad_u64_u32 v[7:8], null, s1, v21, v[8:9]
	v_add_co_u32 v5, vcc_lo, v0, v5
	v_add_co_ci_u32_e32 v6, vcc_lo, v20, v6, vcc_lo
	v_mad_u64_u32 v[14:15], null, s0, v18, 0
	v_add_co_u32 v8, vcc_lo, v0, v9
	v_mov_b32_e32 v13, v7
	v_add_co_ci_u32_e32 v9, vcc_lo, v20, v10, vcc_lo
	v_lshlrev_b64 v[10:11], 4, v[16:17]
	s_clause 0x1
	global_load_dwordx4 v[45:48], v[5:6], off
	global_load_dwordx4 v[33:36], v[8:9], off
	v_lshlrev_b64 v[8:9], 4, v[12:13]
	v_mov_b32_e32 v7, v15
	v_add_nc_u32_e32 v13, 0x75, v92
	v_add_nc_u32_e32 v21, 0x82, v92
	v_add_co_u32 v5, vcc_lo, v0, v10
	v_add_co_ci_u32_e32 v6, vcc_lo, v20, v11, vcc_lo
	v_mad_u64_u32 v[10:11], null, s1, v18, v[7:8]
	v_mad_u64_u32 v[11:12], null, s0, v13, 0
	;; [unrolled: 1-line block ×3, first 2 shown]
	v_add_co_u32 v7, vcc_lo, v0, v8
	v_add_co_ci_u32_e32 v8, vcc_lo, v20, v9, vcc_lo
	v_mov_b32_e32 v15, v10
	v_mov_b32_e32 v9, v12
	v_mov_b32_e32 v10, v17
	v_mad_u64_u32 v[18:19], null, s0, v27, 0
	v_mad_u64_u32 v[12:13], null, s1, v13, v[9:10]
	;; [unrolled: 1-line block ×3, first 2 shown]
	s_clause 0x1
	global_load_dwordx4 v[29:32], v[5:6], off
	global_load_dwordx4 v[21:24], v[7:8], off
	v_lshlrev_b64 v[6:7], 4, v[14:15]
	v_mov_b32_e32 v5, v19
	v_mov_b32_e32 v17, v9
	v_mad_u64_u32 v[8:9], null, s1, v27, v[5:6]
	v_mov_b32_e32 v5, v26
	v_add_co_u32 v6, vcc_lo, v0, v6
	v_lshlrev_b64 v[9:10], 4, v[11:12]
	v_add_co_ci_u32_e32 v7, vcc_lo, v20, v7, vcc_lo
	v_mad_u64_u32 v[11:12], null, s1, v28, v[5:6]
	v_lshlrev_b64 v[12:13], 4, v[16:17]
	v_mov_b32_e32 v19, v8
	v_add_co_u32 v8, vcc_lo, v0, v9
	v_add_co_ci_u32_e32 v9, vcc_lo, v20, v10, vcc_lo
	v_mov_b32_e32 v26, v11
	v_lshlrev_b64 v[14:15], 4, v[18:19]
	v_add_co_u32 v10, vcc_lo, v0, v12
	v_add_co_ci_u32_e32 v11, vcc_lo, v20, v13, vcc_lo
	v_lshlrev_b64 v[12:13], 4, v[25:26]
	v_add_co_u32 v54, vcc_lo, v0, v14
	v_add_co_ci_u32_e32 v55, vcc_lo, v20, v15, vcc_lo
	v_add_co_u32 v56, vcc_lo, v0, v12
	v_add_co_ci_u32_e32 v57, vcc_lo, v20, v13, vcc_lo
	s_clause 0x4
	global_load_dwordx4 v[25:28], v[6:7], off
	global_load_dwordx4 v[17:20], v[8:9], off
	global_load_dwordx4 v[13:16], v[10:11], off
	global_load_dwordx4 v[9:12], v[54:55], off
	global_load_dwordx4 v[5:8], v[56:57], off
.LBB0_14:
	s_or_b32 exec_lo, exec_lo, s10
	s_waitcnt vmcnt(11)
	v_add_f64 v[93:94], v[37:38], v[1:2]
	v_add_f64 v[95:96], v[39:40], v[3:4]
	s_waitcnt vmcnt(0)
	v_add_f64 v[97:98], v[7:8], v[39:40]
	v_add_f64 v[99:100], v[39:40], -v[7:8]
	v_add_f64 v[86:87], v[13:14], v[41:42]
	v_add_f64 v[84:85], v[41:42], -v[13:14]
	v_add_f64 v[90:91], v[9:10], v[49:50]
	v_add_f64 v[82:83], v[11:12], v[51:52]
	v_add_f64 v[88:89], v[49:50], -v[9:10]
	s_mov_b32 s16, 0xe00740e9
	s_mov_b32 s12, 0x4267c47c
	;; [unrolled: 1-line block ×6, first 2 shown]
	v_add_f64 v[74:75], v[15:16], v[43:44]
	v_add_f64 v[78:79], v[43:44], -v[15:16]
	s_mov_b32 s14, 0x1ea71119
	s_mov_b32 s10, 0x42a4c3d2
	;; [unrolled: 1-line block ×5, first 2 shown]
	v_add_f64 v[93:94], v[49:50], v[93:94]
	v_add_f64 v[95:96], v[51:52], v[95:96]
	v_add_f64 v[49:50], v[51:52], -v[11:12]
	v_add_f64 v[51:52], v[5:6], v[37:38]
	v_add_f64 v[37:38], v[37:38], -v[5:6]
	s_mov_b32 s36, s10
	v_add_f64 v[60:61], v[21:22], v[29:30]
	v_add_f64 v[64:65], v[29:30], -v[21:22]
	v_mul_f64 v[115:116], v[90:91], s[14:15]
	v_mul_f64 v[117:118], v[88:89], s[36:37]
	s_mov_b32 s24, 0xebaa3ed8
	s_mov_b32 s38, 0x66966769
	;; [unrolled: 1-line block ×8, first 2 shown]
	v_add_f64 v[54:55], v[23:24], v[31:32]
	v_add_f64 v[56:57], v[31:32], -v[23:24]
	s_mov_b32 s25, 0x3fbedb7d
	s_mov_b32 s39, 0x3fefc445
	v_add_f64 v[39:40], v[41:42], v[93:94]
	v_add_f64 v[41:42], v[43:44], v[95:96]
	s_mov_b32 s35, 0xbfefc445
	v_mul_f64 v[43:44], v[51:52], s[16:17]
	v_mul_f64 v[101:102], v[37:38], s[44:45]
	s_mov_b32 s27, 0xbfd6b1d8
	s_mov_b32 s47, 0x3fedeba7
	;; [unrolled: 1-line block ×13, first 2 shown]
	v_add_f64 v[76:77], v[17:18], v[45:46]
	v_add_f64 v[66:67], v[19:20], v[47:48]
	v_add_f64 v[80:81], v[45:46], -v[17:18]
	v_add_f64 v[70:71], v[47:48], -v[19:20]
	v_add_f64 v[39:40], v[45:46], v[39:40]
	v_add_f64 v[41:42], v[47:48], v[41:42]
	v_mul_f64 v[45:46], v[51:52], s[14:15]
	v_fma_f64 v[159:160], v[99:100], s[12:13], v[43:44]
	v_fma_f64 v[161:162], v[97:98], s[16:17], v[101:102]
	v_mul_f64 v[47:48], v[51:52], s[24:25]
	v_mul_f64 v[93:94], v[51:52], s[26:27]
	;; [unrolled: 1-line block ×11, first 2 shown]
	v_fma_f64 v[43:44], v[99:100], s[44:45], v[43:44]
	v_fma_f64 v[179:180], v[49:50], s[10:11], v[115:116]
	;; [unrolled: 1-line block ×3, first 2 shown]
	v_add_f64 v[68:69], v[25:26], v[33:34]
	v_add_f64 v[72:73], v[33:34], -v[25:26]
	v_mul_f64 v[123:124], v[76:77], s[26:27]
	v_add_f64 v[129:130], v[33:34], v[39:40]
	v_add_f64 v[41:42], v[35:36], v[41:42]
	v_mul_f64 v[125:126], v[80:81], s[28:29]
	v_add_f64 v[159:160], v[1:2], v[159:160]
	v_add_f64 v[161:162], v[3:4], v[161:162]
	v_mul_f64 v[137:138], v[90:91], s[26:27]
	v_mul_f64 v[139:140], v[88:89], s[28:29]
	v_fma_f64 v[169:170], v[99:100], s[10:11], v[45:46]
	v_fma_f64 v[45:46], v[99:100], s[36:37], v[45:46]
	;; [unrolled: 1-line block ×9, first 2 shown]
	v_fma_f64 v[101:102], v[97:98], s[16:17], -v[101:102]
	v_fma_f64 v[183:184], v[97:98], s[22:23], v[111:112]
	v_fma_f64 v[111:112], v[97:98], s[22:23], -v[111:112]
	v_fma_f64 v[185:186], v[97:98], s[18:19], v[113:114]
	v_fma_f64 v[187:188], v[74:75], s[24:25], v[121:122]
	;; [unrolled: 1-line block ×3, first 2 shown]
	v_add_f64 v[29:30], v[29:30], v[129:130]
	v_add_f64 v[31:32], v[31:32], v[41:42]
	;; [unrolled: 1-line block ×6, first 2 shown]
	v_add_f64 v[62:63], v[35:36], -v[27:28]
	v_mul_f64 v[127:128], v[68:69], s[22:23]
	v_mul_f64 v[131:132], v[72:73], s[30:31]
	;; [unrolled: 1-line block ×5, first 2 shown]
	v_fma_f64 v[189:190], v[70:71], s[46:47], v[123:124]
	v_fma_f64 v[193:194], v[49:50], s[46:47], v[137:138]
	;; [unrolled: 1-line block ×3, first 2 shown]
	v_add_f64 v[169:170], v[1:2], v[169:170]
	v_fma_f64 v[117:118], v[82:83], s[14:15], -v[117:118]
	v_add_f64 v[101:102], v[3:4], v[101:102]
	v_mul_f64 v[145:146], v[90:91], s[18:19]
	v_mul_f64 v[41:42], v[88:89], s[40:41]
	;; [unrolled: 1-line block ×4, first 2 shown]
	v_add_f64 v[21:22], v[21:22], v[29:30]
	v_add_f64 v[23:24], v[23:24], v[31:32]
	v_fma_f64 v[29:30], v[99:100], s[20:21], v[51:52]
	v_fma_f64 v[31:32], v[97:98], s[14:15], v[103:104]
	v_fma_f64 v[51:52], v[97:98], s[14:15], -v[103:104]
	v_fma_f64 v[99:100], v[97:98], s[24:25], v[107:108]
	v_fma_f64 v[103:104], v[97:98], s[24:25], -v[107:108]
	;; [unrolled: 2-line block ×3, first 2 shown]
	v_fma_f64 v[97:98], v[97:98], s[18:19], -v[113:114]
	v_fma_f64 v[113:114], v[78:79], s[38:39], v[119:120]
	v_add_f64 v[43:44], v[115:116], v[43:44]
	v_add_f64 v[115:116], v[187:188], v[161:162]
	v_fma_f64 v[119:120], v[78:79], s[34:35], v[119:120]
	v_mul_f64 v[37:38], v[76:77], s[22:23]
	v_mul_f64 v[39:40], v[80:81], s[40:41]
	v_fma_f64 v[179:180], v[58:59], s[22:23], v[131:132]
	v_fma_f64 v[197:198], v[78:79], s[42:43], v[141:142]
	v_fma_f64 v[199:200], v[74:75], s[18:19], v[143:144]
	v_add_f64 v[169:170], v[193:194], v[169:170]
	v_mul_f64 v[157:158], v[90:91], s[22:23]
	v_fma_f64 v[121:122], v[74:75], s[24:25], -v[121:122]
	v_add_f64 v[21:22], v[25:26], v[21:22]
	v_add_f64 v[23:24], v[27:28], v[23:24]
	v_fma_f64 v[25:26], v[66:67], s[26:27], v[125:126]
	v_fma_f64 v[27:28], v[62:63], s[40:41], v[127:128]
	v_add_f64 v[101:102], v[117:118], v[101:102]
	v_add_f64 v[99:100], v[3:4], v[99:100]
	v_mul_f64 v[149:150], v[86:87], s[26:27]
	v_mul_f64 v[151:152], v[84:85], s[46:47]
	v_fma_f64 v[123:124], v[70:71], s[28:29], v[123:124]
	v_fma_f64 v[117:118], v[49:50], s[42:43], v[145:146]
	v_add_f64 v[113:114], v[113:114], v[159:160]
	v_fma_f64 v[159:160], v[82:83], s[18:19], v[147:148]
	v_fma_f64 v[145:146], v[49:50], s[20:21], v[145:146]
	v_fma_f64 v[147:148], v[82:83], s[18:19], -v[147:148]
	v_add_f64 v[43:44], v[119:120], v[43:44]
	v_add_f64 v[47:48], v[1:2], v[47:48]
	;; [unrolled: 1-line block ×3, first 2 shown]
	v_mul_f64 v[163:164], v[84:85], s[12:13]
	v_add_f64 v[107:108], v[3:4], v[107:108]
	v_mul_f64 v[33:34], v[68:69], s[24:25]
	v_mul_f64 v[35:36], v[72:73], s[38:39]
	v_fma_f64 v[181:182], v[56:57], s[42:43], v[133:134]
	v_add_f64 v[17:18], v[17:18], v[21:22]
	v_add_f64 v[21:22], v[3:4], v[31:32]
	;; [unrolled: 1-line block ×4, first 2 shown]
	v_fma_f64 v[191:192], v[54:55], s[18:19], v[135:136]
	v_fma_f64 v[23:24], v[70:71], s[30:31], v[37:38]
	;; [unrolled: 1-line block ×3, first 2 shown]
	v_mul_f64 v[129:130], v[86:87], s[16:17]
	v_add_f64 v[101:102], v[121:122], v[101:102]
	v_add_f64 v[121:122], v[1:2], v[173:174]
	;; [unrolled: 1-line block ×5, first 2 shown]
	v_mul_f64 v[153:154], v[76:77], s[16:17]
	v_mul_f64 v[155:156], v[80:81], s[12:13]
	v_fma_f64 v[125:126], v[66:67], s[26:27], -v[125:126]
	v_fma_f64 v[127:128], v[62:63], s[30:31], v[127:128]
	v_fma_f64 v[161:162], v[78:79], s[28:29], v[149:150]
	;; [unrolled: 1-line block ×4, first 2 shown]
	v_fma_f64 v[151:152], v[74:75], s[26:27], -v[151:152]
	v_add_f64 v[43:44], v[123:124], v[43:44]
	v_add_f64 v[13:14], v[13:14], v[17:18]
	;; [unrolled: 1-line block ×4, first 2 shown]
	v_fma_f64 v[21:22], v[82:83], s[22:23], v[41:42]
	v_add_f64 v[25:26], v[179:180], v[25:26]
	v_fma_f64 v[19:20], v[49:50], s[30:31], v[157:158]
	v_add_f64 v[47:48], v[145:146], v[47:48]
	v_add_f64 v[103:104], v[147:148], v[103:104]
	v_mul_f64 v[167:168], v[80:81], s[34:35]
	v_fma_f64 v[119:120], v[74:75], s[16:17], v[163:164]
	v_add_f64 v[27:28], v[27:28], v[113:114]
	v_add_f64 v[171:172], v[1:2], v[171:172]
	;; [unrolled: 1-line block ×20, first 2 shown]
	v_fma_f64 v[25:26], v[62:63], s[34:35], v[33:34]
	v_fma_f64 v[41:42], v[82:83], s[22:23], -v[41:42]
	v_add_f64 v[1:2], v[181:182], v[27:28]
	v_fma_f64 v[27:28], v[58:59], s[24:25], v[35:36]
	v_mul_f64 v[165:166], v[76:77], s[24:25]
	v_fma_f64 v[115:116], v[78:79], s[44:45], v[129:130]
	v_add_f64 v[19:20], v[19:20], v[121:122]
	v_add_f64 v[101:102], v[125:126], v[101:102]
	;; [unrolled: 1-line block ×5, first 2 shown]
	v_fma_f64 v[125:126], v[70:71], s[12:13], v[153:154]
	v_fma_f64 v[127:128], v[66:67], s[16:17], -v[155:156]
	v_mul_f64 v[145:146], v[72:73], s[42:43]
	v_add_f64 v[5:6], v[5:6], v[9:10]
	v_add_f64 v[9:10], v[31:32], v[13:14]
	v_fma_f64 v[31:32], v[49:50], s[40:41], v[157:158]
	v_add_f64 v[7:8], v[7:8], v[11:12]
	v_mul_f64 v[11:12], v[68:69], s[14:15]
	v_mul_f64 v[13:14], v[72:73], s[36:37]
	v_add_f64 v[21:22], v[119:120], v[21:22]
	v_fma_f64 v[119:120], v[66:67], s[24:25], v[167:168]
	v_add_f64 v[23:24], v[25:26], v[23:24]
	v_fma_f64 v[121:122], v[54:55], s[18:19], -v[135:136]
	v_mul_f64 v[135:136], v[68:69], s[18:19]
	v_mul_f64 v[151:152], v[88:89], s[38:39]
	v_add_f64 v[117:118], v[117:118], v[171:172]
	v_mul_f64 v[88:89], v[88:89], s[12:13]
	v_add_f64 v[19:20], v[115:116], v[19:20]
	v_fma_f64 v[115:116], v[70:71], s[38:39], v[165:166]
	v_mul_f64 v[157:158], v[86:87], s[14:15]
	v_mul_f64 v[159:160], v[84:85], s[36:37]
	;; [unrolled: 1-line block ×3, first 2 shown]
	v_add_f64 v[47:48], v[125:126], v[47:48]
	v_add_f64 v[103:104], v[127:128], v[103:104]
	v_mul_f64 v[84:85], v[84:85], s[30:31]
	v_fma_f64 v[201:202], v[70:71], s[44:45], v[153:154]
	v_add_f64 v[25:26], v[27:28], v[9:10]
	v_add_f64 v[9:10], v[31:32], v[93:94]
	;; [unrolled: 1-line block ×3, first 2 shown]
	v_fma_f64 v[31:32], v[78:79], s[12:13], v[129:130]
	v_fma_f64 v[41:42], v[74:75], s[16:17], -v[163:164]
	v_fma_f64 v[147:148], v[62:63], s[10:11], v[11:12]
	v_fma_f64 v[149:150], v[58:59], s[14:15], v[13:14]
	;; [unrolled: 1-line block ×3, first 2 shown]
	v_fma_f64 v[13:14], v[58:59], s[14:15], -v[13:14]
	v_mul_f64 v[129:130], v[90:91], s[24:25]
	v_add_f64 v[21:22], v[119:120], v[21:22]
	v_fma_f64 v[119:120], v[58:59], s[18:19], v[145:146]
	v_mul_f64 v[90:91], v[90:91], s[16:17]
	v_add_f64 v[107:108], v[161:162], v[117:118]
	v_add_f64 v[19:20], v[115:116], v[19:20]
	v_fma_f64 v[115:116], v[62:63], s[20:21], v[135:136]
	v_fma_f64 v[163:164], v[82:83], s[16:17], v[88:89]
	;; [unrolled: 1-line block ×3, first 2 shown]
	v_add_f64 v[99:100], v[187:188], v[99:100]
	v_fma_f64 v[131:132], v[58:59], s[22:23], -v[131:132]
	v_fma_f64 v[37:38], v[70:71], s[40:41], v[37:38]
	v_fma_f64 v[39:40], v[66:67], s[22:23], -v[39:40]
	v_fma_f64 v[117:118], v[56:57], s[20:21], v[133:134]
	v_mul_f64 v[133:134], v[64:65], s[12:13]
	v_mul_f64 v[93:94], v[60:61], s[22:23]
	v_add_f64 v[9:10], v[31:32], v[9:10]
	v_add_f64 v[27:28], v[41:42], v[27:28]
	v_fma_f64 v[31:32], v[70:71], s[34:35], v[165:166]
	v_fma_f64 v[41:42], v[66:67], s[24:25], -v[167:168]
	v_add_f64 v[47:48], v[11:12], v[47:48]
	v_add_f64 v[103:104], v[13:14], v[103:104]
	v_fma_f64 v[11:12], v[49:50], s[34:35], v[129:130]
	v_fma_f64 v[13:14], v[82:83], s[24:25], v[151:152]
	v_add_f64 v[119:120], v[119:120], v[21:22]
	v_fma_f64 v[21:22], v[82:83], s[24:25], -v[151:152]
	v_fma_f64 v[161:162], v[49:50], s[44:45], v[90:91]
	v_add_f64 v[107:108], v[201:202], v[107:108]
	v_add_f64 v[115:116], v[115:116], v[19:20]
	v_fma_f64 v[19:20], v[49:50], s[38:39], v[129:130]
	v_add_f64 v[123:124], v[163:164], v[123:124]
	v_add_f64 v[99:100], v[203:204], v[99:100]
	;; [unrolled: 1-line block ×3, first 2 shown]
	v_mul_f64 v[131:132], v[60:61], s[16:17]
	v_mul_f64 v[109:110], v[64:65], s[30:31]
	v_fma_f64 v[33:34], v[62:63], s[38:39], v[33:34]
	v_fma_f64 v[35:36], v[58:59], s[24:25], -v[35:36]
	v_fma_f64 v[127:128], v[54:55], s[16:17], v[133:134]
	v_fma_f64 v[153:154], v[56:57], s[40:41], v[93:94]
	;; [unrolled: 1-line block ×3, first 2 shown]
	v_add_f64 v[9:10], v[31:32], v[9:10]
	v_add_f64 v[27:28], v[41:42], v[27:28]
	v_fma_f64 v[31:32], v[49:50], s[12:13], v[90:91]
	v_fma_f64 v[41:42], v[82:83], s[16:17], -v[88:89]
	v_fma_f64 v[49:50], v[49:50], s[28:29], v[137:138]
	v_fma_f64 v[82:83], v[82:83], s[26:27], -v[139:140]
	v_fma_f64 v[88:89], v[62:63], s[42:43], v[135:136]
	v_add_f64 v[11:12], v[11:12], v[15:16]
	v_add_f64 v[13:14], v[13:14], v[17:18]
	v_fma_f64 v[15:16], v[78:79], s[10:11], v[157:158]
	v_fma_f64 v[17:18], v[74:75], s[14:15], v[159:160]
	v_mul_f64 v[135:136], v[76:77], s[18:19]
	v_mul_f64 v[137:138], v[80:81], s[42:43]
	v_fma_f64 v[90:91], v[58:59], s[18:19], -v[145:146]
	v_add_f64 v[21:22], v[21:22], v[111:112]
	v_fma_f64 v[111:112], v[74:75], s[14:15], -v[159:160]
	v_add_f64 v[113:114], v[161:162], v[113:114]
	v_fma_f64 v[139:140], v[78:79], s[40:41], v[86:87]
	v_fma_f64 v[145:146], v[74:75], s[22:23], v[84:85]
	v_mul_f64 v[76:77], v[76:77], s[14:15]
	v_mul_f64 v[80:81], v[80:81], s[10:11]
	v_fma_f64 v[84:85], v[74:75], s[22:23], -v[84:85]
	v_add_f64 v[19:20], v[19:20], v[95:96]
	v_fma_f64 v[95:96], v[78:79], s[36:37], v[157:158]
	v_add_f64 v[29:30], v[31:32], v[29:30]
	v_add_f64 v[31:32], v[41:42], v[97:98]
	v_fma_f64 v[41:42], v[78:79], s[30:31], v[86:87]
	v_add_f64 v[45:46], v[49:50], v[45:46]
	v_add_f64 v[49:50], v[82:83], v[51:52]
	v_fma_f64 v[51:52], v[78:79], s[20:21], v[141:142]
	v_fma_f64 v[74:75], v[74:75], s[18:19], -v[143:144]
	v_add_f64 v[11:12], v[15:16], v[11:12]
	v_add_f64 v[13:14], v[17:18], v[13:14]
	v_fma_f64 v[15:16], v[70:71], s[20:21], v[135:136]
	v_fma_f64 v[17:18], v[66:67], s[18:19], v[137:138]
	v_mul_f64 v[78:79], v[68:69], s[16:17]
	v_mul_f64 v[82:83], v[72:73], s[12:13]
	v_add_f64 v[21:22], v[111:112], v[21:22]
	v_mul_f64 v[68:69], v[68:69], s[26:27]
	v_add_f64 v[97:98], v[139:140], v[113:114]
	v_add_f64 v[111:112], v[145:146], v[123:124]
	v_fma_f64 v[113:114], v[70:71], s[36:37], v[76:77]
	v_fma_f64 v[123:124], v[66:67], s[14:15], v[80:81]
	v_mul_f64 v[72:73], v[72:73], s[28:29]
	v_fma_f64 v[86:87], v[70:71], s[42:43], v[135:136]
	v_add_f64 v[19:20], v[95:96], v[19:20]
	v_fma_f64 v[95:96], v[66:67], s[18:19], -v[137:138]
	v_add_f64 v[31:32], v[84:85], v[31:32]
	v_add_f64 v[29:30], v[41:42], v[29:30]
	v_fma_f64 v[41:42], v[70:71], s[10:11], v[76:77]
	v_fma_f64 v[76:77], v[66:67], s[14:15], -v[80:81]
	v_add_f64 v[45:46], v[51:52], v[45:46]
	v_add_f64 v[49:50], v[74:75], v[49:50]
	;; [unrolled: 1-line block ×4, first 2 shown]
	v_mul_f64 v[147:148], v[60:61], s[14:15]
	v_mul_f64 v[149:150], v[64:65], s[10:11]
	v_add_f64 v[11:12], v[15:16], v[11:12]
	v_add_f64 v[13:14], v[17:18], v[13:14]
	v_fma_f64 v[15:16], v[62:63], s[44:45], v[78:79]
	v_fma_f64 v[17:18], v[58:59], s[16:17], v[82:83]
	v_mul_f64 v[51:52], v[60:61], s[26:27]
	v_mul_f64 v[66:67], v[64:65], s[28:29]
	v_fma_f64 v[70:71], v[62:63], s[12:13], v[78:79]
	v_fma_f64 v[74:75], v[58:59], s[16:17], -v[82:83]
	v_add_f64 v[78:79], v[113:114], v[97:98]
	v_add_f64 v[80:81], v[123:124], v[111:112]
	v_fma_f64 v[82:83], v[62:63], s[46:47], v[68:69]
	v_fma_f64 v[84:85], v[58:59], s[26:27], v[72:73]
	v_mul_f64 v[60:61], v[60:61], s[24:25]
	v_mul_f64 v[64:65], v[64:65], s[38:39]
	v_add_f64 v[29:30], v[41:42], v[29:30]
	v_add_f64 v[31:32], v[76:77], v[31:32]
	v_fma_f64 v[41:42], v[62:63], s[28:29], v[68:69]
	v_fma_f64 v[68:69], v[58:59], s[26:27], -v[72:73]
	v_add_f64 v[19:20], v[86:87], v[19:20]
	v_add_f64 v[21:22], v[95:96], v[21:22]
	;; [unrolled: 1-line block ×4, first 2 shown]
	v_fma_f64 v[125:126], v[56:57], s[44:45], v[131:132]
	v_fma_f64 v[155:156], v[54:55], s[22:23], v[109:110]
	;; [unrolled: 1-line block ×4, first 2 shown]
	v_add_f64 v[45:46], v[88:89], v[9:10]
	v_add_f64 v[72:73], v[15:16], v[11:12]
	;; [unrolled: 1-line block ×3, first 2 shown]
	v_fma_f64 v[86:87], v[56:57], s[46:47], v[51:52]
	v_fma_f64 v[88:89], v[54:55], s[26:27], v[66:67]
	;; [unrolled: 1-line block ×3, first 2 shown]
	v_add_f64 v[78:79], v[82:83], v[78:79]
	v_add_f64 v[80:81], v[84:85], v[80:81]
	v_fma_f64 v[82:83], v[56:57], s[34:35], v[60:61]
	v_fma_f64 v[84:85], v[54:55], s[24:25], v[64:65]
	v_add_f64 v[58:59], v[90:91], v[27:28]
	v_fma_f64 v[60:61], v[56:57], s[38:39], v[60:61]
	v_add_f64 v[90:91], v[41:42], v[29:30]
	v_add_f64 v[31:32], v[68:69], v[31:32]
	v_fma_f64 v[64:65], v[54:55], s[24:25], -v[64:65]
	v_add_f64 v[70:71], v[70:71], v[19:20]
	v_add_f64 v[74:75], v[74:75], v[21:22]
	v_fma_f64 v[51:52], v[56:57], s[28:29], v[51:52]
	v_fma_f64 v[66:67], v[54:55], s[26:27], -v[66:67]
	v_fma_f64 v[62:63], v[54:55], s[14:15], -v[149:150]
	;; [unrolled: 1-line block ×3, first 2 shown]
	v_add_f64 v[68:69], v[33:34], v[37:38]
	v_add_f64 v[95:96], v[35:36], v[39:40]
	v_fma_f64 v[56:57], v[56:57], s[12:13], v[131:132]
	v_fma_f64 v[97:98], v[54:55], s[16:17], -v[133:134]
	v_add_f64 v[13:14], v[125:126], v[23:24]
	v_add_f64 v[15:16], v[127:128], v[25:26]
	;; [unrolled: 1-line block ×22, first 2 shown]
	v_mad_u32_u24 v33, 0x9c0, v92, 0
	v_lshl_add_u32 v0, v106, 4, v33
	ds_write_b128 v0, v[5:8]
	ds_write_b128 v0, v[1:4] offset:192
	ds_write_b128 v0, v[13:16] offset:384
	;; [unrolled: 1-line block ×12, first 2 shown]
	s_waitcnt lgkmcnt(0)
	s_barrier
	buffer_gl0_inv
	s_and_saveexec_b32 s50, s33
	s_cbranch_execz .LBB0_16
; %bb.15:
	v_mul_lo_u16 v0, v92, 20
	v_lshlrev_b32_e32 v34, 4, v106
	v_mov_b32_e32 v47, v105
	v_lshrrev_b16 v0, 8, v0
	v_mul_lo_u16 v0, v0, 13
	v_sub_nc_u16 v0, v92, v0
	v_and_b32_e32 v75, 0xff, v0
	v_mul_u32_u24_e32 v0, 12, v75
	v_lshlrev_b32_e32 v38, 4, v0
	v_mul_i32_i24_e32 v0, 0xfffff700, v92
	s_clause 0x7
	global_load_dwordx4 v[13:16], v38, s[48:49] offset:80
	global_load_dwordx4 v[9:12], v38, s[48:49] offset:96
	;; [unrolled: 1-line block ×8, first 2 shown]
	v_add3_u32 v37, v33, v0, v34
	ds_read_b128 v[33:36], v37 offset:14976
	ds_read_b128 v[39:42], v37 offset:17472
	global_load_dwordx4 v[70:73], v38, s[48:49] offset:16
	ds_read_b128 v[49:52], v37 offset:12480
	ds_read_b128 v[54:57], v37 offset:9984
	;; [unrolled: 1-line block ×3, first 2 shown]
	global_load_dwordx4 v[82:85], v38, s[48:49] offset:160
	ds_read_b128 v[86:89], v37 offset:4992
	s_waitcnt vmcnt(9) lgkmcnt(5)
	v_mul_f64 v[43:44], v[33:34], v[15:16]
	v_mul_f64 v[15:16], v[35:36], v[15:16]
	s_waitcnt vmcnt(8) lgkmcnt(4)
	v_mul_f64 v[45:46], v[39:40], v[11:12]
	v_mul_f64 v[58:59], v[41:42], v[11:12]
	v_fma_f64 v[60:61], v[35:36], v[13:14], v[43:44]
	v_fma_f64 v[66:67], v[33:34], v[13:14], -v[15:16]
	global_load_dwordx4 v[33:36], v38, s[48:49]
	s_waitcnt vmcnt(8) lgkmcnt(3)
	v_mul_f64 v[15:16], v[49:50], v[7:8]
	v_mul_f64 v[7:8], v[51:52], v[7:8]
	v_fma_f64 v[43:44], v[41:42], v[9:10], v[45:46]
	v_fma_f64 v[45:46], v[39:40], v[9:10], -v[58:59]
	s_waitcnt vmcnt(7) lgkmcnt(1)
	v_mul_f64 v[9:10], v[62:63], v[3:4]
	v_mul_f64 v[3:4], v[64:65], v[3:4]
	s_waitcnt vmcnt(6)
	v_mul_f64 v[39:40], v[54:55], v[19:20]
	v_mul_f64 v[19:20], v[56:57], v[19:20]
	ds_read_b128 v[11:14], v37 offset:22464
	v_fma_f64 v[68:69], v[51:52], v[5:6], v[15:16]
	v_fma_f64 v[76:77], v[49:50], v[5:6], -v[7:8]
	ds_read_b128 v[5:8], v37 offset:7488
	v_fma_f64 v[48:49], v[64:65], v[1:2], v[9:10]
	v_fma_f64 v[50:51], v[62:63], v[1:2], -v[3:4]
	v_fma_f64 v[62:63], v[56:57], v[17:18], v[39:40]
	v_fma_f64 v[64:65], v[54:55], v[17:18], -v[19:20]
	ds_read_b128 v[15:18], v37 offset:24960
	s_waitcnt vmcnt(5) lgkmcnt(2)
	v_mul_f64 v[1:2], v[11:12], v[27:28]
	v_mul_f64 v[3:4], v[13:14], v[27:28]
	s_waitcnt vmcnt(4) lgkmcnt(1)
	v_mul_f64 v[19:20], v[7:8], v[23:24]
	v_mul_f64 v[9:10], v[5:6], v[23:24]
	v_fma_f64 v[55:56], v[13:14], v[25:26], v[1:2]
	v_fma_f64 v[57:58], v[11:12], v[25:26], -v[3:4]
	global_load_dwordx4 v[1:4], v38, s[48:49] offset:176
	s_waitcnt vmcnt(4) lgkmcnt(0)
	v_mul_f64 v[11:12], v[15:16], v[31:32]
	ds_read_b128 v[23:26], v37 offset:27456
	s_waitcnt vmcnt(3)
	v_mul_f64 v[13:14], v[86:87], v[72:73]
	v_fma_f64 v[172:173], v[5:6], v[21:22], -v[19:20]
	v_mul_f64 v[5:6], v[17:18], v[31:32]
	v_fma_f64 v[170:171], v[7:8], v[21:22], v[9:10]
	v_mul_lo_u32 v22, v53, v75
	v_mov_b32_e32 v21, 4
	v_bfe_u32 v0, v22, 8, 8
	v_lshlrev_b32_sdwa v7, v21, v22 dst_sel:DWORD dst_unused:UNUSED_PAD src0_sel:DWORD src1_sel:BYTE_0
	v_fma_f64 v[78:79], v[17:18], v[29:30], v[11:12]
	v_fma_f64 v[174:175], v[88:89], v[70:71], v[13:14]
	s_waitcnt vmcnt(2) lgkmcnt(0)
	v_mul_f64 v[13:14], v[23:24], v[84:85]
	v_lshl_or_b32 v0, v0, 4, 0x1000
	v_fma_f64 v[168:169], v[15:16], v[29:30], -v[5:6]
	s_clause 0x1
	global_load_dwordx4 v[5:8], v7, s[8:9]
	global_load_dwordx4 v[9:12], v0, s[8:9]
	v_mul_f64 v[15:16], v[88:89], v[72:73]
	ds_read_b128 v[17:20], v37 offset:2496
	v_bfe_u32 v0, v22, 16, 8
	v_lshl_or_b32 v0, v0, 4, 0x2000
	v_fma_f64 v[176:177], v[86:87], v[70:71], -v[15:16]
	v_mul_f64 v[15:16], v[25:26], v[84:85]
	v_fma_f64 v[70:71], v[25:26], v[82:83], v[13:14]
	v_fma_f64 v[72:73], v[23:24], v[82:83], -v[15:16]
	ds_read_b128 v[13:16], v37
	s_waitcnt vmcnt(3) lgkmcnt(1)
	v_mul_f64 v[23:24], v[17:18], v[35:36]
	v_mul_f64 v[25:26], v[19:20], v[35:36]
	v_fma_f64 v[82:83], v[19:20], v[33:34], v[23:24]
	v_fma_f64 v[84:85], v[17:18], v[33:34], -v[25:26]
	ds_read_b128 v[17:20], v37 offset:29952
	global_load_dwordx4 v[33:36], v0, s[8:9]
	v_add_nc_u32_e32 v0, 0x9c, v75
	v_mul_lo_u32 v0, v53, v0
	s_waitcnt vmcnt(3) lgkmcnt(0)
	v_mul_f64 v[23:24], v[17:18], v[3:4]
	v_mul_f64 v[3:4], v[19:20], v[3:4]
	v_fma_f64 v[86:87], v[19:20], v[1:2], v[23:24]
	v_fma_f64 v[88:89], v[17:18], v[1:2], -v[3:4]
	s_waitcnt vmcnt(1)
	v_mul_f64 v[1:2], v[7:8], v[11:12]
	v_mul_f64 v[3:4], v[5:6], v[11:12]
	v_add_nc_u32_e32 v11, 0x8f, v75
	v_mul_lo_u32 v24, v53, v11
	v_fma_f64 v[102:103], v[5:6], v[9:10], -v[1:2]
	v_bfe_u32 v1, v0, 8, 8
	v_bfe_u32 v2, v0, 16, 8
	v_fma_f64 v[104:105], v[7:8], v[9:10], v[3:4]
	v_bfe_u32 v3, v24, 16, 8
	v_lshlrev_b32_sdwa v0, v21, v0 dst_sel:DWORD dst_unused:UNUSED_PAD src0_sel:DWORD src1_sel:BYTE_0
	v_lshl_or_b32 v1, v1, 4, 0x1000
	v_lshl_or_b32 v9, v2, 4, 0x2000
	;; [unrolled: 1-line block ×3, first 2 shown]
	s_clause 0x3
	global_load_dwordx4 v[1:4], v1, s[8:9]
	global_load_dwordx4 v[5:8], v0, s[8:9]
	global_load_dwordx4 v[9:12], v9, s[8:9]
	global_load_dwordx4 v[17:20], v17, s[8:9]
	v_bfe_u32 v0, v24, 8, 8
	v_lshl_or_b32 v0, v0, 4, 0x1000
	s_waitcnt vmcnt(2)
	v_mul_f64 v[22:23], v[7:8], v[3:4]
	v_mul_f64 v[3:4], v[5:6], v[3:4]
	v_fma_f64 v[30:31], v[5:6], v[1:2], -v[22:23]
	v_fma_f64 v[124:125], v[7:8], v[1:2], v[3:4]
	v_lshlrev_b32_sdwa v1, v21, v24 dst_sel:DWORD dst_unused:UNUSED_PAD src0_sel:DWORD src1_sel:BYTE_0
	s_clause 0x1
	global_load_dwordx4 v[1:4], v1, s[8:9]
	global_load_dwordx4 v[5:8], v0, s[8:9]
	v_add_nc_u32_e32 v0, 0x82, v75
	v_mul_lo_u32 v0, v53, v0
	s_waitcnt vmcnt(0)
	v_mul_f64 v[22:23], v[3:4], v[7:8]
	v_fma_f64 v[126:127], v[1:2], v[5:6], -v[22:23]
	v_mul_f64 v[1:2], v[1:2], v[7:8]
	v_fma_f64 v[128:129], v[3:4], v[5:6], v[1:2]
	v_add_nc_u32_e32 v1, 0x75, v75
	v_bfe_u32 v2, v0, 16, 8
	v_mul_lo_u32 v32, v53, v1
	v_bfe_u32 v1, v0, 8, 8
	v_lshl_or_b32 v22, v2, 4, 0x2000
	v_lshlrev_b32_sdwa v0, v21, v0 dst_sel:DWORD dst_unused:UNUSED_PAD src0_sel:DWORD src1_sel:BYTE_0
	v_lshl_or_b32 v1, v1, 4, 0x1000
	v_bfe_u32 v2, v32, 16, 8
	v_lshl_or_b32 v26, v2, 4, 0x2000
	s_clause 0x3
	global_load_dwordx4 v[1:4], v1, s[8:9]
	global_load_dwordx4 v[5:8], v0, s[8:9]
	global_load_dwordx4 v[22:25], v22, s[8:9]
	global_load_dwordx4 v[26:29], v26, s[8:9]
	v_bfe_u32 v0, v32, 8, 8
	v_lshl_or_b32 v0, v0, 4, 0x1000
	s_waitcnt vmcnt(2)
	v_mul_f64 v[37:38], v[7:8], v[3:4]
	v_mul_f64 v[3:4], v[5:6], v[3:4]
	v_fma_f64 v[130:131], v[5:6], v[1:2], -v[37:38]
	v_fma_f64 v[132:133], v[7:8], v[1:2], v[3:4]
	v_lshlrev_b32_sdwa v1, v21, v32 dst_sel:DWORD dst_unused:UNUSED_PAD src0_sel:DWORD src1_sel:BYTE_0
	s_clause 0x1
	global_load_dwordx4 v[1:4], v1, s[8:9]
	global_load_dwordx4 v[5:8], v0, s[8:9]
	v_add_nc_u32_e32 v0, 0x68, v75
	v_mul_lo_u32 v0, v53, v0
	s_waitcnt vmcnt(0)
	v_mul_f64 v[37:38], v[3:4], v[7:8]
	v_fma_f64 v[134:135], v[1:2], v[5:6], -v[37:38]
	v_mul_f64 v[1:2], v[1:2], v[7:8]
	v_fma_f64 v[136:137], v[3:4], v[5:6], v[1:2]
	v_add_nc_u32_e32 v1, 0x5b, v75
	v_bfe_u32 v2, v0, 16, 8
	v_mul_lo_u32 v32, v53, v1
	v_bfe_u32 v1, v0, 8, 8
	v_lshl_or_b32 v37, v2, 4, 0x2000
	v_lshlrev_b32_sdwa v0, v21, v0 dst_sel:DWORD dst_unused:UNUSED_PAD src0_sel:DWORD src1_sel:BYTE_0
	v_lshl_or_b32 v1, v1, 4, 0x1000
	v_bfe_u32 v2, v32, 16, 8
	v_lshl_or_b32 v41, v2, 4, 0x2000
	;; [unrolled: 32-line block ×5, first 2 shown]
	s_clause 0x3
	global_load_dwordx4 v[1:4], v1, s[8:9]
	global_load_dwordx4 v[5:8], v0, s[8:9]
	;; [unrolled: 1-line block ×4, first 2 shown]
	v_lshlrev_b32_sdwa v0, v21, v32 dst_sel:DWORD dst_unused:UNUSED_PAD src0_sel:DWORD src1_sel:BYTE_0
	s_waitcnt vmcnt(2)
	v_mul_f64 v[162:163], v[7:8], v[3:4]
	v_mul_f64 v[3:4], v[5:6], v[3:4]
	v_fma_f64 v[162:163], v[5:6], v[1:2], -v[162:163]
	v_fma_f64 v[164:165], v[7:8], v[1:2], v[3:4]
	v_bfe_u32 v1, v32, 8, 8
	v_lshl_or_b32 v5, v1, 4, 0x1000
	s_clause 0x1
	global_load_dwordx4 v[1:4], v0, s[8:9]
	global_load_dwordx4 v[5:8], v5, s[8:9]
	s_waitcnt vmcnt(0)
	v_mul_f64 v[166:167], v[3:4], v[7:8]
	v_fma_f64 v[166:167], v[1:2], v[5:6], -v[166:167]
	v_mul_f64 v[1:2], v[1:2], v[7:8]
	v_mul_f64 v[7:8], v[128:129], v[19:20]
	v_fma_f64 v[1:2], v[3:4], v[5:6], v[1:2]
	v_mul_f64 v[3:4], v[124:125], v[11:12]
	v_fma_f64 v[5:6], v[9:10], v[30:31], -v[3:4]
	v_mul_f64 v[3:4], v[30:31], v[11:12]
	v_mul_f64 v[11:12], v[132:133], v[24:25]
	;; [unrolled: 1-line block ×3, first 2 shown]
	v_fma_f64 v[3:4], v[9:10], v[124:125], v[3:4]
	v_fma_f64 v[9:10], v[17:18], v[126:127], -v[7:8]
	v_mul_f64 v[7:8], v[126:127], v[19:20]
	v_mul_f64 v[19:20], v[136:137], v[28:29]
	v_fma_f64 v[80:81], v[94:95], v[146:147], -v[31:32]
	v_mul_f64 v[31:32], v[146:147], v[96:97]
	v_fma_f64 v[7:8], v[17:18], v[128:129], v[7:8]
	v_fma_f64 v[17:18], v[22:23], v[130:131], -v[11:12]
	v_mul_f64 v[11:12], v[130:131], v[24:25]
	v_fma_f64 v[31:32], v[94:95], v[148:149], v[31:32]
	v_mul_f64 v[94:95], v[158:159], v[114:115]
	v_fma_f64 v[11:12], v[22:23], v[132:133], v[11:12]
	v_fma_f64 v[21:22], v[26:27], v[134:135], -v[19:20]
	v_mul_f64 v[19:20], v[134:135], v[28:29]
	v_mul_f64 v[23:24], v[140:141], v[39:40]
	v_fma_f64 v[19:20], v[26:27], v[136:137], v[19:20]
	v_fma_f64 v[25:26], v[37:38], v[138:139], -v[23:24]
	v_mul_f64 v[23:24], v[138:139], v[39:40]
	v_mul_f64 v[27:28], v[144:145], v[92:93]
	;; [unrolled: 1-line block ×3, first 2 shown]
	v_fma_f64 v[53:54], v[37:38], v[140:141], v[23:24]
	v_fma_f64 v[37:38], v[90:91], v[142:143], -v[27:28]
	v_mul_f64 v[27:28], v[142:143], v[92:93]
	v_fma_f64 v[39:40], v[98:99], v[152:153], v[39:40]
	v_fma_f64 v[29:30], v[90:91], v[144:145], v[27:28]
	v_mul_f64 v[90:91], v[152:153], v[100:101]
	v_fma_f64 v[124:125], v[98:99], v[150:151], -v[90:91]
	v_mul_f64 v[90:91], v[154:155], v[110:111]
	v_fma_f64 v[92:93], v[108:109], v[156:157], v[90:91]
	v_mul_f64 v[90:91], v[156:157], v[110:111]
	v_fma_f64 v[23:24], v[108:109], v[154:155], -v[90:91]
	buffer_store_dword v23, off, s[52:55], 0 offset:16 ; 4-byte Folded Spill
	buffer_store_dword v24, off, s[52:55], 0 offset:20 ; 4-byte Folded Spill
	;; [unrolled: 1-line block ×20, first 2 shown]
	v_fma_f64 v[108:109], v[112:113], v[160:161], v[94:95]
	v_mul_f64 v[94:95], v[160:161], v[114:115]
	buffer_store_dword v55, off, s[52:55], 0 offset:56 ; 4-byte Folded Spill
	buffer_store_dword v56, off, s[52:55], 0 offset:60 ; 4-byte Folded Spill
	;; [unrolled: 1-line block ×8, first 2 shown]
	v_mov_b32_e32 v91, v85
	v_mov_b32_e32 v90, v84
	buffer_store_dword v48, off, s[52:55], 0 offset:80 ; 4-byte Folded Spill
	buffer_store_dword v49, off, s[52:55], 0 offset:84 ; 4-byte Folded Spill
	;; [unrolled: 1-line block ×4, first 2 shown]
	v_mov_b32_e32 v85, v77
	v_mov_b32_e32 v84, v76
	v_add_f64 v[114:115], v[90:91], -v[88:89]
	v_add_f64 v[128:129], v[90:91], v[88:89]
	v_fma_f64 v[110:111], v[112:113], v[158:159], -v[94:95]
	v_mul_f64 v[94:95], v[162:163], v[118:119]
	v_fma_f64 v[100:101], v[116:117], v[164:165], v[94:95]
	v_mul_f64 v[94:95], v[164:165], v[118:119]
	v_fma_f64 v[96:97], v[116:117], v[162:163], -v[94:95]
	v_mul_f64 v[94:95], v[166:167], v[122:123]
	v_fma_f64 v[98:99], v[120:121], v[1:2], v[94:95]
	v_mul_f64 v[1:2], v[1:2], v[122:123]
	v_fma_f64 v[94:95], v[120:121], v[166:167], -v[1:2]
	v_add_f64 v[112:113], v[82:83], v[86:87]
	v_add_f64 v[118:119], v[174:175], v[70:71]
	v_add_f64 v[120:121], v[176:177], -v[72:73]
	v_add_f64 v[134:135], v[174:175], -v[70:71]
	v_add_f64 v[136:137], v[176:177], v[72:73]
	v_add_f64 v[142:143], v[172:173], -v[168:169]
	v_add_f64 v[148:149], v[172:173], v[168:169]
	v_add_f64 v[154:155], v[64:65], -v[57:58]
	v_add_f64 v[160:161], v[64:65], v[57:58]
	v_add_f64 v[166:167], v[76:77], -v[50:51]
	v_add_f64 v[172:173], v[76:77], v[50:51]
	v_mov_b32_e32 v51, v60
	v_mov_b32_e32 v52, v61
	v_mov_b32_e32 v77, v46
	v_mov_b32_e32 v76, v45
	v_mul_f64 v[116:117], v[112:113], s[16:17]
	v_mul_f64 v[122:123], v[118:119], s[14:15]
	;; [unrolled: 1-line block ×8, first 2 shown]
	v_fma_f64 v[1:2], v[114:115], s[12:13], v[116:117]
	v_fma_f64 v[126:127], v[120:121], s[10:11], v[122:123]
	;; [unrolled: 1-line block ×6, first 2 shown]
	v_add_f64 v[1:2], v[15:16], v[1:2]
	v_add_f64 v[1:2], v[126:127], v[1:2]
	v_add_f64 v[126:127], v[82:83], -v[86:87]
	v_mov_b32_e32 v83, v69
	v_mov_b32_e32 v82, v68
	v_mul_f64 v[130:131], v[126:127], s[44:45]
	v_fma_f64 v[132:133], v[128:129], s[16:17], v[130:131]
	v_add_f64 v[132:133], v[13:14], v[132:133]
	v_add_f64 v[132:133], v[140:141], v[132:133]
	;; [unrolled: 1-line block ×3, first 2 shown]
	v_mul_f64 v[144:145], v[140:141], s[24:25]
	v_fma_f64 v[146:147], v[142:143], s[38:39], v[144:145]
	v_add_f64 v[1:2], v[146:147], v[1:2]
	v_add_f64 v[146:147], v[170:171], -v[78:79]
	v_mov_b32_e32 v79, v44
	v_mov_b32_e32 v78, v43
	v_mul_f64 v[150:151], v[146:147], s[34:35]
	v_fma_f64 v[152:153], v[148:149], s[24:25], v[150:151]
	v_add_f64 v[132:133], v[152:153], v[132:133]
	v_add_f64 v[152:153], v[62:63], v[55:56]
	v_mul_f64 v[156:157], v[152:153], s[26:27]
	v_fma_f64 v[158:159], v[154:155], s[46:47], v[156:157]
	v_add_f64 v[1:2], v[158:159], v[1:2]
	v_add_f64 v[158:159], v[62:63], -v[55:56]
	v_mul_f64 v[162:163], v[158:159], s[28:29]
	v_fma_f64 v[164:165], v[160:161], s[26:27], v[162:163]
	v_add_f64 v[132:133], v[164:165], v[132:133]
	v_add_f64 v[164:165], v[82:83], v[48:49]
	v_mul_f64 v[168:169], v[164:165], s[22:23]
	v_fma_f64 v[170:171], v[166:167], s[40:41], v[168:169]
	v_add_f64 v[1:2], v[170:171], v[1:2]
	v_add_f64 v[170:171], v[82:83], -v[48:49]
	v_mov_b32_e32 v49, v66
	v_mov_b32_e32 v50, v67
	;; [unrolled: 1-line block ×3, first 2 shown]
	v_mul_f64 v[106:107], v[140:141], s[14:15]
	v_add_f64 v[178:179], v[49:50], v[76:77]
	v_add_f64 v[184:185], v[49:50], -v[76:77]
	v_mul_f64 v[174:175], v[170:171], s[30:31]
	v_fma_f64 v[176:177], v[172:173], s[22:23], v[174:175]
	v_add_f64 v[132:133], v[176:177], v[132:133]
	v_add_f64 v[176:177], v[51:52], -v[78:79]
	v_mul_f64 v[180:181], v[176:177], s[20:21]
	v_fma_f64 v[182:183], v[178:179], s[18:19], v[180:181]
	v_add_f64 v[132:133], v[182:183], v[132:133]
	v_add_f64 v[182:183], v[51:52], v[78:79]
	v_mul_f64 v[186:187], v[182:183], s[18:19]
	v_mul_f64 v[73:74], v[182:183], s[26:27]
	v_fma_f64 v[188:189], v[184:185], s[42:43], v[186:187]
	v_add_f64 v[1:2], v[188:189], v[1:2]
	v_mul_f64 v[188:189], v[132:133], v[3:4]
	v_mul_f64 v[190:191], v[1:2], v[3:4]
	v_fma_f64 v[2:3], v[1:2], v[5:6], v[188:189]
	v_mul_f64 v[188:189], v[118:119], s[26:27]
	v_fma_f64 v[0:1], v[132:133], v[5:6], -v[190:191]
	v_mul_f64 v[132:133], v[112:113], s[14:15]
	v_fma_f64 v[190:191], v[120:121], s[46:47], v[188:189]
	buffer_store_dword v0, off, s[52:55], 0 ; 4-byte Folded Spill
	buffer_store_dword v1, off, s[52:55], 0 offset:4 ; 4-byte Folded Spill
	buffer_store_dword v2, off, s[52:55], 0 offset:8 ; 4-byte Folded Spill
	;; [unrolled: 1-line block ×3, first 2 shown]
	v_fma_f64 v[5:6], v[114:115], s[10:11], v[132:133]
	v_fma_f64 v[2:3], v[114:115], s[40:41], v[27:28]
	v_add_f64 v[5:6], v[15:16], v[5:6]
	v_add_f64 v[2:3], v[15:16], v[2:3]
	;; [unrolled: 1-line block ×3, first 2 shown]
	v_mul_f64 v[190:191], v[126:127], s[36:37]
	v_fma_f64 v[192:193], v[128:129], s[14:15], v[190:191]
	v_add_f64 v[192:193], v[13:14], v[192:193]
	v_add_f64 v[192:193], v[196:197], v[192:193]
	v_mul_f64 v[196:197], v[140:141], s[18:19]
	v_fma_f64 v[198:199], v[142:143], s[42:43], v[196:197]
	v_add_f64 v[5:6], v[198:199], v[5:6]
	v_mul_f64 v[198:199], v[146:147], s[20:21]
	v_fma_f64 v[200:201], v[148:149], s[18:19], v[198:199]
	;; [unrolled: 3-line block ×8, first 2 shown]
	v_add_f64 v[5:6], v[212:213], v[5:6]
	v_mul_f64 v[212:213], v[192:193], v[7:8]
	v_mul_f64 v[214:215], v[5:6], v[7:8]
	v_fma_f64 v[71:72], v[5:6], v[9:10], v[212:213]
	v_mul_f64 v[212:213], v[118:119], s[18:19]
	v_fma_f64 v[6:7], v[136:137], s[24:25], v[23:24]
	v_mul_f64 v[4:5], v[170:171], s[12:13]
	v_fma_f64 v[69:70], v[192:193], v[9:10], -v[214:215]
	v_mul_f64 v[192:193], v[112:113], s[24:25]
	v_fma_f64 v[214:215], v[120:121], s[42:43], v[212:213]
	v_fma_f64 v[9:10], v[114:115], s[38:39], v[192:193]
	v_add_f64 v[9:10], v[15:16], v[9:10]
	v_add_f64 v[9:10], v[214:215], v[9:10]
	v_mul_f64 v[214:215], v[126:127], s[34:35]
	v_fma_f64 v[216:217], v[128:129], s[24:25], v[214:215]
	v_add_f64 v[216:217], v[13:14], v[216:217]
	v_add_f64 v[216:217], v[220:221], v[216:217]
	v_mul_f64 v[220:221], v[140:141], s[26:27]
	v_fma_f64 v[222:223], v[142:143], s[28:29], v[220:221]
	v_add_f64 v[9:10], v[222:223], v[9:10]
	v_mul_f64 v[222:223], v[146:147], s[46:47]
	v_fma_f64 v[224:225], v[148:149], s[26:27], v[222:223]
	;; [unrolled: 3-line block ×8, first 2 shown]
	v_add_f64 v[9:10], v[236:237], v[9:10]
	v_mul_f64 v[236:237], v[216:217], v[11:12]
	v_mul_f64 v[238:239], v[9:10], v[11:12]
	v_fma_f64 v[67:68], v[9:10], v[17:18], v[236:237]
	v_mul_f64 v[236:237], v[118:119], s[22:23]
	v_mul_f64 v[8:9], v[158:159], s[42:43]
	v_fma_f64 v[65:66], v[216:217], v[17:18], -v[238:239]
	v_mul_f64 v[216:217], v[112:113], s[26:27]
	v_fma_f64 v[238:239], v[120:121], s[30:31], v[236:237]
	v_fma_f64 v[17:18], v[114:115], s[46:47], v[216:217]
	v_add_f64 v[17:18], v[15:16], v[17:18]
	v_add_f64 v[17:18], v[238:239], v[17:18]
	v_mul_f64 v[238:239], v[126:127], s[28:29]
	v_fma_f64 v[240:241], v[128:129], s[26:27], v[238:239]
	v_add_f64 v[240:241], v[13:14], v[240:241]
	v_add_f64 v[240:241], v[244:245], v[240:241]
	v_mul_f64 v[244:245], v[140:141], s[16:17]
	v_fma_f64 v[246:247], v[142:143], s[44:45], v[244:245]
	v_add_f64 v[17:18], v[246:247], v[17:18]
	v_mul_f64 v[246:247], v[146:147], s[12:13]
	v_fma_f64 v[248:249], v[148:149], s[16:17], v[246:247]
	;; [unrolled: 3-line block ×8, first 2 shown]
	v_add_f64 v[17:18], v[45:46], v[17:18]
	v_mul_f64 v[45:46], v[41:42], v[19:20]
	v_mul_f64 v[0:1], v[17:18], v[19:20]
	v_fma_f64 v[63:64], v[17:18], v[21:22], v[45:46]
	v_mul_f64 v[45:46], v[126:127], s[30:31]
	v_mul_f64 v[17:18], v[146:147], s[36:37]
	v_fma_f64 v[19:20], v[160:161], s[18:19], v[8:9]
	v_fma_f64 v[61:62], v[41:42], v[21:22], -v[0:1]
	v_mul_f64 v[41:42], v[118:119], s[24:25]
	v_fma_f64 v[10:11], v[148:149], s[14:15], v[17:18]
	v_fma_f64 v[21:22], v[120:121], s[34:35], v[41:42]
	v_add_f64 v[2:3], v[21:22], v[2:3]
	v_fma_f64 v[21:22], v[128:129], s[22:23], v[45:46]
	v_add_f64 v[21:22], v[13:14], v[21:22]
	v_add_f64 v[6:7], v[6:7], v[21:22]
	v_fma_f64 v[21:22], v[142:143], s[10:11], v[106:107]
	v_add_f64 v[6:7], v[10:11], v[6:7]
	v_mul_f64 v[10:11], v[152:153], s[18:19]
	v_add_f64 v[2:3], v[21:22], v[2:3]
	v_add_f64 v[6:7], v[19:20], v[6:7]
	v_fma_f64 v[21:22], v[154:155], s[20:21], v[10:11]
	v_mul_f64 v[19:20], v[164:165], s[16:17]
	v_add_f64 v[2:3], v[21:22], v[2:3]
	v_fma_f64 v[21:22], v[166:167], s[44:45], v[19:20]
	v_add_f64 v[2:3], v[21:22], v[2:3]
	v_fma_f64 v[21:22], v[172:173], s[16:17], v[4:5]
	v_fma_f64 v[4:5], v[172:173], s[16:17], -v[4:5]
	v_add_f64 v[6:7], v[21:22], v[6:7]
	v_mul_f64 v[21:22], v[176:177], s[28:29]
	v_fma_f64 v[55:56], v[178:179], s[26:27], v[21:22]
	v_add_f64 v[6:7], v[55:56], v[6:7]
	v_fma_f64 v[55:56], v[184:185], s[46:47], v[73:74]
	v_add_f64 v[2:3], v[55:56], v[2:3]
	v_mul_f64 v[55:56], v[6:7], v[53:54]
	v_mul_f64 v[53:54], v[2:3], v[53:54]
	v_fma_f64 v[59:60], v[2:3], v[25:26], v[55:56]
	v_mul_f64 v[2:3], v[112:113], s[18:19]
	v_fma_f64 v[57:58], v[6:7], v[25:26], -v[53:54]
	v_mul_f64 v[6:7], v[118:119], s[16:17]
	v_fma_f64 v[25:26], v[114:115], s[42:43], v[2:3]
	v_mul_f64 v[118:119], v[134:135], s[12:13]
	v_fma_f64 v[112:113], v[120:121], s[44:45], v[6:7]
	v_add_f64 v[25:26], v[15:16], v[25:26]
	v_fma_f64 v[134:135], v[136:137], s[16:17], v[118:119]
	v_add_f64 v[25:26], v[112:113], v[25:26]
	v_mul_f64 v[112:113], v[126:127], s[20:21]
	v_fma_f64 v[126:127], v[128:129], s[18:19], v[112:113]
	v_add_f64 v[126:127], v[13:14], v[126:127]
	v_add_f64 v[126:127], v[134:135], v[126:127]
	v_mul_f64 v[134:135], v[140:141], s[22:23]
	v_fma_f64 v[140:141], v[142:143], s[40:41], v[134:135]
	v_add_f64 v[25:26], v[140:141], v[25:26]
	v_mul_f64 v[140:141], v[146:147], s[30:31]
	v_fma_f64 v[146:147], v[148:149], s[22:23], v[140:141]
	;; [unrolled: 3-line block ×8, first 2 shown]
	v_add_f64 v[25:26], v[182:183], v[25:26]
	v_mul_f64 v[182:183], v[126:127], v[29:30]
	v_mul_f64 v[0:1], v[25:26], v[29:30]
	v_fma_f64 v[55:56], v[25:26], v[37:38], v[182:183]
	v_fma_f64 v[53:54], v[126:127], v[37:38], -v[0:1]
	v_fma_f64 v[0:1], v[114:115], s[20:21], v[2:3]
	v_fma_f64 v[2:3], v[120:121], s[12:13], v[6:7]
	v_fma_f64 v[6:7], v[136:137], s[16:17], -v[118:119]
	v_add_f64 v[0:1], v[15:16], v[0:1]
	v_add_f64 v[0:1], v[2:3], v[0:1]
	v_fma_f64 v[2:3], v[128:129], s[18:19], -v[112:113]
	v_add_f64 v[2:3], v[13:14], v[2:3]
	v_add_f64 v[2:3], v[6:7], v[2:3]
	v_fma_f64 v[6:7], v[142:143], s[30:31], v[134:135]
	v_add_f64 v[0:1], v[6:7], v[0:1]
	v_fma_f64 v[6:7], v[148:149], s[22:23], -v[140:141]
	v_add_f64 v[2:3], v[6:7], v[2:3]
	v_fma_f64 v[6:7], v[154:155], s[10:11], v[146:147]
	v_add_f64 v[0:1], v[6:7], v[0:1]
	v_fma_f64 v[6:7], v[160:161], s[14:15], -v[152:153]
	;; [unrolled: 4-line block ×3, first 2 shown]
	v_add_f64 v[2:3], v[6:7], v[2:3]
	v_fma_f64 v[6:7], v[178:179], s[24:25], -v[170:171]
	v_add_f64 v[2:3], v[6:7], v[2:3]
	v_fma_f64 v[6:7], v[184:185], s[38:39], v[176:177]
	v_add_f64 v[0:1], v[6:7], v[0:1]
	v_mul_f64 v[6:7], v[2:3], v[31:32]
	v_mul_f64 v[25:26], v[0:1], v[31:32]
	v_fma_f64 v[31:32], v[0:1], v[80:81], v[6:7]
	v_fma_f64 v[0:1], v[114:115], s[30:31], v[27:28]
	v_fma_f64 v[6:7], v[136:137], s[24:25], -v[23:24]
	v_fma_f64 v[23:24], v[136:137], s[14:15], -v[138:139]
	;; [unrolled: 1-line block ×4, first 2 shown]
	v_fma_f64 v[2:3], v[120:121], s[38:39], v[41:42]
	v_add_f64 v[0:1], v[15:16], v[0:1]
	v_fma_f64 v[25:26], v[160:161], s[22:23], -v[202:203]
	v_add_f64 v[0:1], v[2:3], v[0:1]
	v_fma_f64 v[2:3], v[128:129], s[22:23], -v[45:46]
	v_mad_u64_u32 v[45:46], null, s2, v48, 0
	v_add_f64 v[2:3], v[13:14], v[2:3]
	v_add_f64 v[2:3], v[6:7], v[2:3]
	v_fma_f64 v[6:7], v[142:143], s[36:37], v[106:107]
	v_add_f64 v[0:1], v[6:7], v[0:1]
	v_fma_f64 v[6:7], v[148:149], s[14:15], -v[17:18]
	v_fma_f64 v[17:18], v[114:115], s[36:37], v[132:133]
	v_add_f64 v[2:3], v[6:7], v[2:3]
	v_fma_f64 v[6:7], v[154:155], s[42:43], v[10:11]
	v_add_f64 v[17:18], v[15:16], v[17:18]
	v_add_f64 v[0:1], v[6:7], v[0:1]
	v_fma_f64 v[6:7], v[160:161], s[18:19], -v[8:9]
	v_fma_f64 v[8:9], v[136:137], s[18:19], -v[218:219]
	v_add_f64 v[2:3], v[6:7], v[2:3]
	v_fma_f64 v[6:7], v[166:167], s[12:13], v[19:20]
	v_fma_f64 v[19:20], v[114:115], s[44:45], v[116:117]
	v_add_f64 v[2:3], v[4:5], v[2:3]
	v_fma_f64 v[4:5], v[178:179], s[26:27], -v[21:22]
	v_add_f64 v[0:1], v[6:7], v[0:1]
	s_clause 0x1
	buffer_load_dword v21, off, s[52:55], 0 offset:136
	buffer_load_dword v22, off, s[52:55], 0 offset:140
	v_add_f64 v[19:20], v[15:16], v[19:20]
	v_add_f64 v[2:3], v[4:5], v[2:3]
	v_fma_f64 v[4:5], v[184:185], s[28:29], v[73:74]
	v_add_f64 v[0:1], v[4:5], v[0:1]
	v_mul_f64 v[4:5], v[2:3], v[39:40]
	v_mul_f64 v[6:7], v[0:1], v[39:40]
	v_fma_f64 v[39:40], v[0:1], v[124:125], v[4:5]
	v_fma_f64 v[4:5], v[114:115], s[34:35], v[192:193]
	v_mul_f64 v[0:1], v[102:103], v[35:36]
	v_fma_f64 v[37:38], v[2:3], v[124:125], -v[6:7]
	v_fma_f64 v[6:7], v[120:121], s[20:21], v[212:213]
	v_add_f64 v[4:5], v[15:16], v[4:5]
	v_mul_f64 v[2:3], v[104:105], v[35:36]
	v_fma_f64 v[0:1], v[33:34], v[104:105], v[0:1]
	v_add_f64 v[4:5], v[6:7], v[4:5]
	v_fma_f64 v[6:7], v[142:143], s[46:47], v[220:221]
	v_fma_f64 v[2:3], v[33:34], v[102:103], -v[2:3]
	v_add_f64 v[4:5], v[6:7], v[4:5]
	v_fma_f64 v[6:7], v[154:155], s[12:13], v[224:225]
	v_add_f64 v[4:5], v[6:7], v[4:5]
	v_fma_f64 v[6:7], v[166:167], s[36:37], v[228:229]
	v_add_f64 v[4:5], v[6:7], v[4:5]
	v_fma_f64 v[6:7], v[128:129], s[24:25], -v[214:215]
	v_add_f64 v[6:7], v[13:14], v[6:7]
	v_add_f64 v[6:7], v[8:9], v[6:7]
	v_fma_f64 v[8:9], v[148:149], s[26:27], -v[222:223]
	v_add_f64 v[6:7], v[8:9], v[6:7]
	v_fma_f64 v[8:9], v[160:161], s[16:17], -v[226:227]
	;; [unrolled: 2-line block ×4, first 2 shown]
	v_add_f64 v[6:7], v[8:9], v[6:7]
	v_fma_f64 v[8:9], v[184:185], s[30:31], v[234:235]
	v_add_f64 v[4:5], v[8:9], v[4:5]
	v_mul_f64 v[8:9], v[6:7], v[108:109]
	v_mul_f64 v[10:11], v[4:5], v[108:109]
	v_fma_f64 v[35:36], v[4:5], v[110:111], v[8:9]
	v_fma_f64 v[4:5], v[128:129], s[26:27], -v[238:239]
	v_fma_f64 v[8:9], v[128:129], s[16:17], -v[130:131]
	;; [unrolled: 1-line block ×4, first 2 shown]
	v_fma_f64 v[10:11], v[114:115], s[28:29], v[216:217]
	v_add_f64 v[4:5], v[13:14], v[4:5]
	v_add_f64 v[8:9], v[13:14], v[8:9]
	;; [unrolled: 1-line block ×5, first 2 shown]
	s_waitcnt vmcnt(0)
	v_add_f64 v[14:15], v[15:16], v[21:22]
	v_fma_f64 v[21:22], v[120:121], s[40:41], v[236:237]
	v_add_f64 v[8:9], v[23:24], v[8:9]
	v_add_f64 v[10:11], v[21:22], v[10:11]
	v_fma_f64 v[21:22], v[142:143], s[12:13], v[244:245]
	v_add_f64 v[8:9], v[27:28], v[8:9]
	;; [unrolled: 3-line block ×3, first 2 shown]
	v_fma_f64 v[21:22], v[166:167], s[42:43], v[252:253]
	v_add_f64 v[10:11], v[21:22], v[10:11]
	v_fma_f64 v[21:22], v[136:137], s[22:23], -v[242:243]
	v_add_f64 v[4:5], v[21:22], v[4:5]
	v_fma_f64 v[21:22], v[148:149], s[16:17], -v[246:247]
	;; [unrolled: 2-line block ×4, first 2 shown]
	v_add_f64 v[4:5], v[21:22], v[4:5]
	v_fma_f64 v[21:22], v[120:121], s[28:29], v[188:189]
	v_add_f64 v[16:17], v[21:22], v[17:18]
	s_clause 0x1
	buffer_load_dword v21, off, s[52:55], 0 offset:88
	buffer_load_dword v22, off, s[52:55], 0 offset:92
	s_waitcnt vmcnt(0)
	v_add_f64 v[12:13], v[12:13], v[21:22]
	s_clause 0x1
	buffer_load_dword v21, off, s[52:55], 0 offset:72
	buffer_load_dword v22, off, s[52:55], 0 offset:76
	s_waitcnt vmcnt(0)
	v_add_f64 v[14:15], v[14:15], v[21:22]
	v_fma_f64 v[21:22], v[142:143], s[20:21], v[196:197]
	v_add_f64 v[16:17], v[21:22], v[16:17]
	s_clause 0x1
	buffer_load_dword v21, off, s[52:55], 0 offset:112
	buffer_load_dword v22, off, s[52:55], 0 offset:116
	s_waitcnt vmcnt(0)
	v_add_f64 v[12:13], v[12:13], v[21:22]
	s_clause 0x1
	buffer_load_dword v21, off, s[52:55], 0 offset:104
	buffer_load_dword v22, off, s[52:55], 0 offset:108
	s_waitcnt vmcnt(0)
	v_add_f64 v[14:15], v[14:15], v[21:22]
	v_fma_f64 v[21:22], v[154:155], s[40:41], v[200:201]
	v_add_f64 v[16:17], v[21:22], v[16:17]
	s_clause 0x1
	buffer_load_dword v21, off, s[52:55], 0 offset:128
	buffer_load_dword v22, off, s[52:55], 0 offset:132
	s_waitcnt vmcnt(0)
	v_add_f64 v[12:13], v[12:13], v[21:22]
	s_clause 0x1
	buffer_load_dword v21, off, s[52:55], 0 offset:120
	buffer_load_dword v22, off, s[52:55], 0 offset:124
	v_add_f64 v[12:13], v[12:13], v[84:85]
	v_add_f64 v[12:13], v[12:13], v[49:50]
	;; [unrolled: 1-line block ×3, first 2 shown]
	s_waitcnt vmcnt(0)
	v_add_f64 v[14:15], v[14:15], v[21:22]
	v_fma_f64 v[21:22], v[166:167], s[38:39], v[204:205]
	v_add_f64 v[14:15], v[14:15], v[82:83]
	v_add_f64 v[16:17], v[21:22], v[16:17]
	v_fma_f64 v[21:22], v[136:137], s[26:27], -v[194:195]
	v_add_f64 v[14:15], v[14:15], v[51:52]
	v_add_f64 v[6:7], v[21:22], v[6:7]
	v_fma_f64 v[21:22], v[148:149], s[18:19], -v[198:199]
	v_add_f64 v[14:15], v[14:15], v[78:79]
	v_add_f64 v[6:7], v[21:22], v[6:7]
	v_fma_f64 v[21:22], v[120:121], s[36:37], v[122:123]
	v_add_f64 v[6:7], v[25:26], v[6:7]
	v_add_f64 v[18:19], v[21:22], v[19:20]
	s_clause 0x1
	buffer_load_dword v20, off, s[52:55], 0 offset:96
	buffer_load_dword v21, off, s[52:55], 0 offset:100
	v_fma_f64 v[25:26], v[142:143], s[34:35], v[144:145]
	v_fma_f64 v[22:23], v[160:161], s[26:27], -v[162:163]
	v_add_f64 v[18:19], v[25:26], v[18:19]
	v_fma_f64 v[26:27], v[172:173], s[22:23], -v[174:175]
	v_add_f64 v[8:9], v[22:23], v[8:9]
	;; [unrolled: 2-line block ×3, first 2 shown]
	v_fma_f64 v[26:27], v[184:185], s[10:11], v[43:44]
	v_add_f64 v[8:9], v[22:23], v[8:9]
	v_add_f64 v[10:11], v[26:27], v[10:11]
	v_mul_f64 v[26:27], v[8:9], v[98:99]
	s_waitcnt vmcnt(0)
	v_add_f64 v[12:13], v[12:13], v[20:21]
	s_clause 0x3
	buffer_load_dword v20, off, s[52:55], 0 offset:80
	buffer_load_dword v21, off, s[52:55], 0 offset:84
	buffer_load_dword v24, off, s[52:55], 0 offset:64
	buffer_load_dword v25, off, s[52:55], 0 offset:68
	s_waitcnt vmcnt(2)
	v_add_f64 v[14:15], v[14:15], v[20:21]
	v_fma_f64 v[20:21], v[172:173], s[24:25], -v[206:207]
	s_waitcnt vmcnt(0)
	v_add_f64 v[12:13], v[12:13], v[24:25]
	s_clause 0x1
	buffer_load_dword v24, off, s[52:55], 0 offset:56
	buffer_load_dword v25, off, s[52:55], 0 offset:60
	v_add_f64 v[6:7], v[20:21], v[6:7]
	v_fma_f64 v[20:21], v[154:155], s[28:29], v[156:157]
	v_add_f64 v[18:19], v[20:21], v[18:19]
	s_clause 0x1
	buffer_load_dword v20, off, s[52:55], 0 offset:48
	buffer_load_dword v21, off, s[52:55], 0 offset:52
	s_waitcnt vmcnt(2)
	v_add_f64 v[14:15], v[14:15], v[24:25]
	v_fma_f64 v[24:25], v[178:179], s[16:17], -v[208:209]
	v_add_f64 v[6:7], v[24:25], v[6:7]
	v_fma_f64 v[24:25], v[166:167], s[30:31], v[168:169]
	s_waitcnt vmcnt(0)
	v_add_f64 v[12:13], v[12:13], v[20:21]
	s_clause 0x1
	buffer_load_dword v20, off, s[52:55], 0 offset:40
	buffer_load_dword v21, off, s[52:55], 0 offset:44
	v_add_f64 v[18:19], v[24:25], v[18:19]
	s_clause 0x1
	buffer_load_dword v24, off, s[52:55], 0 offset:32
	buffer_load_dword v25, off, s[52:55], 0 offset:36
	s_waitcnt vmcnt(2)
	v_add_f64 v[14:15], v[14:15], v[20:21]
	v_fma_f64 v[20:21], v[184:185], s[12:13], v[210:211]
	s_waitcnt vmcnt(0)
	v_add_f64 v[12:13], v[12:13], v[24:25]
	s_clause 0x1
	buffer_load_dword v24, off, s[52:55], 0 offset:24
	buffer_load_dword v25, off, s[52:55], 0 offset:28
	v_add_f64 v[16:17], v[20:21], v[16:17]
	v_fma_f64 v[20:21], v[178:179], s[14:15], -v[240:241]
	v_add_f64 v[4:5], v[20:21], v[4:5]
	v_add_f64 v[20:21], v[12:13], v[88:89]
	v_mul_f64 v[12:13], v[6:7], v[100:101]
	s_waitcnt vmcnt(0)
	v_add_f64 v[14:15], v[14:15], v[24:25]
	v_fma_f64 v[24:25], v[184:185], s[20:21], v[186:187]
	v_add_f64 v[22:23], v[14:15], v[86:87]
	v_mov_b32_e32 v14, 0x1a5
	v_add_f64 v[18:19], v[24:25], v[18:19]
	v_mul_f64 v[24:25], v[16:17], v[100:101]
	v_fma_f64 v[15:16], v[16:17], v[96:97], v[12:13]
	v_mul_u32_u24_sdwa v14, v47, v14 dst_sel:DWORD dst_unused:UNUSED_PAD src0_sel:WORD_0 src1_sel:DWORD
	v_lshrrev_b32_e32 v14, 16, v14
	v_mul_lo_u16 v28, 0xa9, v14
	v_add_nc_u32_sdwa v28, v75, v28 dst_sel:DWORD dst_unused:UNUSED_PAD src0_sel:DWORD src1_sel:WORD_0
	s_clause 0x1
	buffer_load_dword v75, off, s[52:55], 0 offset:16
	buffer_load_dword v76, off, s[52:55], 0 offset:20
	v_mul_f64 v[41:42], v[18:19], v[98:99]
	v_fma_f64 v[13:14], v[6:7], v[96:97], -v[24:25]
	v_mul_f64 v[24:25], v[20:21], v[0:1]
	v_mul_f64 v[0:1], v[22:23], v[0:1]
	v_mad_u64_u32 v[73:74], null, s0, v28, 0
	v_add_nc_u32_e32 v12, 13, v28
	v_mul_f64 v[6:7], v[4:5], v[92:93]
	v_fma_f64 v[43:44], v[18:19], v[94:95], v[26:27]
	v_mul_f64 v[26:27], v[10:11], v[92:93]
	v_fma_f64 v[41:42], v[8:9], v[94:95], -v[41:42]
	v_mov_b32_e32 v8, v46
	v_mov_b32_e32 v9, v74
	v_fma_f64 v[51:52], v[22:23], v[2:3], v[24:25]
	v_fma_f64 v[49:50], v[20:21], v[2:3], -v[0:1]
	v_add_nc_u32_e32 v3, 26, v28
	v_mad_u64_u32 v[17:18], null, s3, v48, v[8:9]
	v_mad_u64_u32 v[18:19], null, s0, v12, 0
	;; [unrolled: 1-line block ×4, first 2 shown]
	v_mov_b32_e32 v46, v17
	s_lshl_b64 s[2:3], s[6:7], 4
	v_mov_b32_e32 v0, v19
	s_add_u32 s2, s4, s2
	v_mov_b32_e32 v74, v8
	s_addc_u32 s3, s5, s3
	v_mad_u64_u32 v[8:9], null, s1, v12, v[0:1]
	v_add_nc_u32_e32 v12, 39, v28
	v_mov_b32_e32 v0, v2
	v_mov_b32_e32 v19, v8
	v_mad_u64_u32 v[2:3], null, s1, v3, v[0:1]
	v_add_nc_u32_e32 v8, 52, v28
	s_waitcnt vmcnt(0)
	v_fma_f64 v[47:48], v[10:11], v[75:76], v[6:7]
	v_mad_u64_u32 v[9:10], null, s0, v12, 0
	v_lshlrev_b64 v[6:7], 4, v[45:46]
	v_fma_f64 v[45:46], v[4:5], v[75:76], -v[26:27]
	v_mov_b32_e32 v0, v10
	v_add_co_u32 v20, vcc_lo, s2, v6
	v_add_co_ci_u32_e32 v21, vcc_lo, s3, v7, vcc_lo
	v_lshlrev_b64 v[6:7], 4, v[73:74]
	v_lshlrev_b64 v[10:11], 4, v[18:19]
	v_mad_u64_u32 v[17:18], null, s1, v12, v[0:1]
	v_lshlrev_b64 v[0:1], 4, v[1:2]
	v_add_co_u32 v6, vcc_lo, v20, v6
	v_add_co_ci_u32_e32 v7, vcc_lo, v21, v7, vcc_lo
	v_add_co_u32 v2, vcc_lo, v20, v10
	v_mov_b32_e32 v10, v17
	v_add_co_ci_u32_e32 v3, vcc_lo, v21, v11, vcc_lo
	v_mad_u64_u32 v[11:12], null, s0, v8, 0
	v_add_co_u32 v0, vcc_lo, v20, v0
	v_lshlrev_b64 v[4:5], 4, v[9:10]
	global_store_dwordx4 v[6:7], v[49:52], off
	v_add_nc_u32_e32 v7, 0x41, v28
	v_add_co_ci_u32_e32 v1, vcc_lo, v21, v1, vcc_lo
	global_store_dwordx4 v[2:3], v[41:44], off
	global_store_dwordx4 v[0:1], v[13:16], off
	v_mov_b32_e32 v0, v12
	v_add_co_u32 v1, vcc_lo, v20, v4
	v_mad_u64_u32 v[3:4], null, s0, v7, 0
	v_add_co_ci_u32_e32 v2, vcc_lo, v21, v5, vcc_lo
	v_mad_u64_u32 v[5:6], null, s1, v8, v[0:1]
	v_add_nc_u32_e32 v9, 0x4e, v28
	global_store_dwordx4 v[1:2], v[33:36], off
	v_mov_b32_e32 v2, v4
	v_add_nc_u32_e32 v10, 0x5b, v28
	v_add_nc_u32_e32 v15, 0x8f, v28
	v_mad_u64_u32 v[0:1], null, s0, v9, 0
	v_mov_b32_e32 v12, v5
	v_mad_u64_u32 v[4:5], null, s1, v7, v[2:3]
	v_mad_u64_u32 v[5:6], null, s0, v10, 0
                                        ; kill: def $vgpr2 killed $sgpr0 killed $exec
	v_lshlrev_b64 v[7:8], 4, v[11:12]
	v_mad_u64_u32 v[1:2], null, s1, v9, v[1:2]
	v_add_nc_u32_e32 v11, 0x75, v28
	v_lshlrev_b64 v[3:4], 4, v[3:4]
	v_add_nc_u32_e32 v12, 0x82, v28
	v_mov_b32_e32 v2, v6
	v_add_co_u32 v7, vcc_lo, v20, v7
	v_add_co_ci_u32_e32 v8, vcc_lo, v21, v8, vcc_lo
	v_mad_u64_u32 v[9:10], null, s1, v10, v[2:3]
	v_add_nc_u32_e32 v10, 0x68, v28
	v_lshlrev_b64 v[0:1], 4, v[0:1]
	v_add_co_u32 v2, vcc_lo, v20, v3
	global_store_dwordx4 v[7:8], v[45:48], off
	v_mad_u64_u32 v[7:8], null, s0, v10, 0
	v_mov_b32_e32 v6, v9
	v_add_co_ci_u32_e32 v3, vcc_lo, v21, v4, vcc_lo
	v_add_co_u32 v0, vcc_lo, v20, v0
	v_lshlrev_b64 v[4:5], 4, v[5:6]
	v_add_co_ci_u32_e32 v1, vcc_lo, v21, v1, vcc_lo
	global_store_dwordx4 v[2:3], v[37:40], off
	global_store_dwordx4 v[0:1], v[29:32], off
	v_mov_b32_e32 v0, v8
	v_add_co_u32 v1, vcc_lo, v20, v4
	v_add_co_ci_u32_e32 v2, vcc_lo, v21, v5, vcc_lo
	v_add_nc_u32_e32 v16, 0x9c, v28
	v_mad_u64_u32 v[3:4], null, s1, v10, v[0:1]
	v_mad_u64_u32 v[4:5], null, s0, v11, 0
	global_store_dwordx4 v[1:2], v[53:56], off
	v_mad_u64_u32 v[9:10], null, s0, v15, 0
	v_mad_u64_u32 v[0:1], null, s0, v12, 0
	v_mov_b32_e32 v8, v3
	v_mov_b32_e32 v2, v5
	v_lshlrev_b64 v[5:6], 4, v[7:8]
	v_mad_u64_u32 v[2:3], null, s1, v11, v[2:3]
	v_mov_b32_e32 v3, v10
	v_add_co_u32 v13, vcc_lo, v20, v5
	v_add_co_ci_u32_e32 v14, vcc_lo, v21, v6, vcc_lo
	v_mad_u64_u32 v[7:8], null, s1, v12, v[1:2]
	v_mad_u64_u32 v[11:12], null, s0, v16, 0
	v_mov_b32_e32 v5, v2
	v_mad_u64_u32 v[2:3], null, s1, v15, v[3:4]
	global_store_dwordx4 v[13:14], v[57:60], off
	v_mov_b32_e32 v1, v7
	v_lshlrev_b64 v[4:5], 4, v[4:5]
	v_mov_b32_e32 v3, v12
	v_mov_b32_e32 v10, v2
	v_lshlrev_b64 v[0:1], 4, v[0:1]
	v_add_co_u32 v2, vcc_lo, v20, v4
	v_mad_u64_u32 v[6:7], null, s1, v16, v[3:4]
	v_add_co_ci_u32_e32 v3, vcc_lo, v21, v5, vcc_lo
	v_lshlrev_b64 v[4:5], 4, v[9:10]
	v_add_co_u32 v0, vcc_lo, v20, v0
	v_add_co_ci_u32_e32 v1, vcc_lo, v21, v1, vcc_lo
	v_mov_b32_e32 v12, v6
	v_add_co_u32 v4, vcc_lo, v20, v4
	v_add_co_ci_u32_e32 v5, vcc_lo, v21, v5, vcc_lo
	global_store_dwordx4 v[2:3], v[61:64], off
	global_store_dwordx4 v[0:1], v[65:68], off
	global_store_dwordx4 v[4:5], v[69:72], off
	s_clause 0x3
	buffer_load_dword v0, off, s[52:55], 0
	buffer_load_dword v1, off, s[52:55], 0 offset:4
	buffer_load_dword v2, off, s[52:55], 0 offset:8
	;; [unrolled: 1-line block ×3, first 2 shown]
	v_lshlrev_b64 v[6:7], 4, v[11:12]
	v_add_co_u32 v6, vcc_lo, v20, v6
	v_add_co_ci_u32_e32 v7, vcc_lo, v21, v7, vcc_lo
	s_waitcnt vmcnt(0)
	global_store_dwordx4 v[6:7], v[0:3], off
.LBB0_16:
	s_endpgm
	.section	.rodata,"a",@progbits
	.p2align	6, 0x0
	.amdhsa_kernel fft_rtc_fwd_len169_factors_13_13_wgs_156_tpt_13_dp_ip_CI_sbcc_twdbase8_3step_dirReg
		.amdhsa_group_segment_fixed_size 0
		.amdhsa_private_segment_fixed_size 148
		.amdhsa_kernarg_size 96
		.amdhsa_user_sgpr_count 6
		.amdhsa_user_sgpr_private_segment_buffer 1
		.amdhsa_user_sgpr_dispatch_ptr 0
		.amdhsa_user_sgpr_queue_ptr 0
		.amdhsa_user_sgpr_kernarg_segment_ptr 1
		.amdhsa_user_sgpr_dispatch_id 0
		.amdhsa_user_sgpr_flat_scratch_init 0
		.amdhsa_user_sgpr_private_segment_size 0
		.amdhsa_wavefront_size32 1
		.amdhsa_uses_dynamic_stack 0
		.amdhsa_system_sgpr_private_segment_wavefront_offset 1
		.amdhsa_system_sgpr_workgroup_id_x 1
		.amdhsa_system_sgpr_workgroup_id_y 0
		.amdhsa_system_sgpr_workgroup_id_z 0
		.amdhsa_system_sgpr_workgroup_info 0
		.amdhsa_system_vgpr_workitem_id 0
		.amdhsa_next_free_vgpr 256
		.amdhsa_next_free_sgpr 56
		.amdhsa_reserve_vcc 1
		.amdhsa_reserve_flat_scratch 0
		.amdhsa_float_round_mode_32 0
		.amdhsa_float_round_mode_16_64 0
		.amdhsa_float_denorm_mode_32 3
		.amdhsa_float_denorm_mode_16_64 3
		.amdhsa_dx10_clamp 1
		.amdhsa_ieee_mode 1
		.amdhsa_fp16_overflow 0
		.amdhsa_workgroup_processor_mode 1
		.amdhsa_memory_ordered 1
		.amdhsa_forward_progress 0
		.amdhsa_shared_vgpr_count 0
		.amdhsa_exception_fp_ieee_invalid_op 0
		.amdhsa_exception_fp_denorm_src 0
		.amdhsa_exception_fp_ieee_div_zero 0
		.amdhsa_exception_fp_ieee_overflow 0
		.amdhsa_exception_fp_ieee_underflow 0
		.amdhsa_exception_fp_ieee_inexact 0
		.amdhsa_exception_int_div_zero 0
	.end_amdhsa_kernel
	.text
.Lfunc_end0:
	.size	fft_rtc_fwd_len169_factors_13_13_wgs_156_tpt_13_dp_ip_CI_sbcc_twdbase8_3step_dirReg, .Lfunc_end0-fft_rtc_fwd_len169_factors_13_13_wgs_156_tpt_13_dp_ip_CI_sbcc_twdbase8_3step_dirReg
                                        ; -- End function
	.section	.AMDGPU.csdata,"",@progbits
; Kernel info:
; codeLenInByte = 14176
; NumSgprs: 58
; NumVgprs: 256
; ScratchSize: 148
; MemoryBound: 1
; FloatMode: 240
; IeeeMode: 1
; LDSByteSize: 0 bytes/workgroup (compile time only)
; SGPRBlocks: 7
; VGPRBlocks: 31
; NumSGPRsForWavesPerEU: 58
; NumVGPRsForWavesPerEU: 256
; Occupancy: 4
; WaveLimiterHint : 1
; COMPUTE_PGM_RSRC2:SCRATCH_EN: 1
; COMPUTE_PGM_RSRC2:USER_SGPR: 6
; COMPUTE_PGM_RSRC2:TRAP_HANDLER: 0
; COMPUTE_PGM_RSRC2:TGID_X_EN: 1
; COMPUTE_PGM_RSRC2:TGID_Y_EN: 0
; COMPUTE_PGM_RSRC2:TGID_Z_EN: 0
; COMPUTE_PGM_RSRC2:TIDIG_COMP_CNT: 0
	.text
	.p2alignl 6, 3214868480
	.fill 48, 4, 3214868480
	.type	__hip_cuid_e42cec9b2327e26e,@object ; @__hip_cuid_e42cec9b2327e26e
	.section	.bss,"aw",@nobits
	.globl	__hip_cuid_e42cec9b2327e26e
__hip_cuid_e42cec9b2327e26e:
	.byte	0                               ; 0x0
	.size	__hip_cuid_e42cec9b2327e26e, 1

	.ident	"AMD clang version 19.0.0git (https://github.com/RadeonOpenCompute/llvm-project roc-6.4.0 25133 c7fe45cf4b819c5991fe208aaa96edf142730f1d)"
	.section	".note.GNU-stack","",@progbits
	.addrsig
	.addrsig_sym __hip_cuid_e42cec9b2327e26e
	.amdgpu_metadata
---
amdhsa.kernels:
  - .args:
      - .actual_access:  read_only
        .address_space:  global
        .offset:         0
        .size:           8
        .value_kind:     global_buffer
      - .address_space:  global
        .offset:         8
        .size:           8
        .value_kind:     global_buffer
      - .offset:         16
        .size:           8
        .value_kind:     by_value
      - .actual_access:  read_only
        .address_space:  global
        .offset:         24
        .size:           8
        .value_kind:     global_buffer
      - .actual_access:  read_only
        .address_space:  global
        .offset:         32
        .size:           8
        .value_kind:     global_buffer
      - .offset:         40
        .size:           8
        .value_kind:     by_value
      - .actual_access:  read_only
        .address_space:  global
        .offset:         48
        .size:           8
        .value_kind:     global_buffer
      - .actual_access:  read_only
        .address_space:  global
        .offset:         56
        .size:           8
        .value_kind:     global_buffer
      - .offset:         64
        .size:           4
        .value_kind:     by_value
      - .actual_access:  read_only
        .address_space:  global
        .offset:         72
        .size:           8
        .value_kind:     global_buffer
      - .actual_access:  read_only
        .address_space:  global
        .offset:         80
        .size:           8
        .value_kind:     global_buffer
      - .address_space:  global
        .offset:         88
        .size:           8
        .value_kind:     global_buffer
    .group_segment_fixed_size: 0
    .kernarg_segment_align: 8
    .kernarg_segment_size: 96
    .language:       OpenCL C
    .language_version:
      - 2
      - 0
    .max_flat_workgroup_size: 156
    .name:           fft_rtc_fwd_len169_factors_13_13_wgs_156_tpt_13_dp_ip_CI_sbcc_twdbase8_3step_dirReg
    .private_segment_fixed_size: 148
    .sgpr_count:     58
    .sgpr_spill_count: 0
    .symbol:         fft_rtc_fwd_len169_factors_13_13_wgs_156_tpt_13_dp_ip_CI_sbcc_twdbase8_3step_dirReg.kd
    .uniform_work_group_size: 1
    .uses_dynamic_stack: false
    .vgpr_count:     256
    .vgpr_spill_count: 36
    .wavefront_size: 32
    .workgroup_processor_mode: 1
amdhsa.target:   amdgcn-amd-amdhsa--gfx1030
amdhsa.version:
  - 1
  - 2
...

	.end_amdgpu_metadata
